;; amdgpu-corpus repo=ROCm/rocFFT kind=compiled arch=gfx950 opt=O3
	.text
	.amdgcn_target "amdgcn-amd-amdhsa--gfx950"
	.amdhsa_code_object_version 6
	.protected	fft_rtc_back_len1260_factors_2_2_3_3_5_7_wgs_63_tpt_63_halfLds_half_op_CI_CI_sbrr_dirReg ; -- Begin function fft_rtc_back_len1260_factors_2_2_3_3_5_7_wgs_63_tpt_63_halfLds_half_op_CI_CI_sbrr_dirReg
	.globl	fft_rtc_back_len1260_factors_2_2_3_3_5_7_wgs_63_tpt_63_halfLds_half_op_CI_CI_sbrr_dirReg
	.p2align	8
	.type	fft_rtc_back_len1260_factors_2_2_3_3_5_7_wgs_63_tpt_63_halfLds_half_op_CI_CI_sbrr_dirReg,@function
fft_rtc_back_len1260_factors_2_2_3_3_5_7_wgs_63_tpt_63_halfLds_half_op_CI_CI_sbrr_dirReg: ; @fft_rtc_back_len1260_factors_2_2_3_3_5_7_wgs_63_tpt_63_halfLds_half_op_CI_CI_sbrr_dirReg
; %bb.0:
	s_load_dwordx4 s[12:15], s[0:1], 0x18
	s_load_dwordx4 s[4:7], s[0:1], 0x0
	;; [unrolled: 1-line block ×3, first 2 shown]
	v_mul_u32_u24_e32 v1, 0x411, v0
	v_add_u32_sdwa v10, s2, v1 dst_sel:DWORD dst_unused:UNUSED_PAD src0_sel:DWORD src1_sel:WORD_1
	s_waitcnt lgkmcnt(0)
	s_load_dwordx2 s[18:19], s[12:13], 0x0
	s_load_dwordx2 s[16:17], s[14:15], 0x0
	v_mov_b32_e32 v6, 0
	v_cmp_lt_u64_e64 s[2:3], s[6:7], 2
	v_mov_b32_e32 v11, v6
	s_and_b64 vcc, exec, s[2:3]
	v_mov_b64_e32 v[8:9], 0
	s_cbranch_vccnz .LBB0_8
; %bb.1:
	s_load_dwordx2 s[2:3], s[0:1], 0x10
	s_add_u32 s20, s14, 8
	s_addc_u32 s21, s15, 0
	s_add_u32 s22, s12, 8
	s_addc_u32 s23, s13, 0
	s_waitcnt lgkmcnt(0)
	s_add_u32 s24, s2, 8
	v_mov_b64_e32 v[8:9], 0
	s_addc_u32 s25, s3, 0
	s_mov_b64 s[26:27], 1
	v_mov_b64_e32 v[2:3], v[8:9]
.LBB0_2:                                ; =>This Inner Loop Header: Depth=1
	s_load_dwordx2 s[28:29], s[24:25], 0x0
                                        ; implicit-def: $vgpr4_vgpr5
	s_waitcnt lgkmcnt(0)
	v_or_b32_e32 v7, s29, v11
	v_cmp_ne_u64_e32 vcc, 0, v[6:7]
	s_and_saveexec_b64 s[2:3], vcc
	s_xor_b64 s[30:31], exec, s[2:3]
	s_cbranch_execz .LBB0_4
; %bb.3:                                ;   in Loop: Header=BB0_2 Depth=1
	v_cvt_f32_u32_e32 v1, s28
	v_cvt_f32_u32_e32 v4, s29
	s_sub_u32 s2, 0, s28
	s_subb_u32 s3, 0, s29
	v_fmac_f32_e32 v1, 0x4f800000, v4
	v_rcp_f32_e32 v1, v1
	s_nop 0
	v_mul_f32_e32 v1, 0x5f7ffffc, v1
	v_mul_f32_e32 v4, 0x2f800000, v1
	v_trunc_f32_e32 v4, v4
	v_fmac_f32_e32 v1, 0xcf800000, v4
	v_cvt_u32_f32_e32 v7, v4
	v_cvt_u32_f32_e32 v1, v1
	v_mul_lo_u32 v4, s2, v7
	v_mul_hi_u32 v12, s2, v1
	v_mul_lo_u32 v5, s3, v1
	v_add_u32_e32 v12, v12, v4
	v_mul_lo_u32 v14, s2, v1
	v_add_u32_e32 v15, v12, v5
	v_mul_hi_u32 v4, v1, v14
	v_mul_hi_u32 v13, v1, v15
	v_mul_lo_u32 v12, v1, v15
	v_mov_b32_e32 v5, v6
	v_lshl_add_u64 v[4:5], v[4:5], 0, v[12:13]
	v_mul_hi_u32 v13, v7, v14
	v_mul_lo_u32 v14, v7, v14
	v_add_co_u32_e32 v4, vcc, v4, v14
	v_mul_hi_u32 v12, v7, v15
	s_nop 0
	v_addc_co_u32_e32 v4, vcc, v5, v13, vcc
	v_mov_b32_e32 v5, v6
	s_nop 0
	v_addc_co_u32_e32 v13, vcc, 0, v12, vcc
	v_mul_lo_u32 v12, v7, v15
	v_lshl_add_u64 v[4:5], v[4:5], 0, v[12:13]
	v_add_co_u32_e32 v1, vcc, v1, v4
	v_mul_lo_u32 v12, s2, v1
	s_nop 0
	v_addc_co_u32_e32 v7, vcc, v7, v5, vcc
	v_mul_lo_u32 v4, s2, v7
	v_mul_hi_u32 v5, s2, v1
	v_add_u32_e32 v4, v5, v4
	v_mul_lo_u32 v5, s3, v1
	v_add_u32_e32 v14, v4, v5
	v_mul_hi_u32 v16, v7, v12
	v_mul_lo_u32 v17, v7, v12
	v_mul_hi_u32 v5, v1, v14
	v_mul_lo_u32 v4, v1, v14
	v_mul_hi_u32 v12, v1, v12
	v_mov_b32_e32 v13, v6
	v_lshl_add_u64 v[4:5], v[12:13], 0, v[4:5]
	v_add_co_u32_e32 v4, vcc, v4, v17
	v_mul_hi_u32 v15, v7, v14
	s_nop 0
	v_addc_co_u32_e32 v4, vcc, v5, v16, vcc
	v_mul_lo_u32 v12, v7, v14
	s_nop 0
	v_addc_co_u32_e32 v13, vcc, 0, v15, vcc
	v_mov_b32_e32 v5, v6
	v_lshl_add_u64 v[4:5], v[4:5], 0, v[12:13]
	v_add_co_u32_e32 v1, vcc, v1, v4
	v_mul_hi_u32 v12, v10, v1
	s_nop 0
	v_addc_co_u32_e32 v7, vcc, v7, v5, vcc
	v_mad_u64_u32 v[4:5], s[2:3], v10, v7, 0
	v_mov_b32_e32 v13, v6
	v_lshl_add_u64 v[4:5], v[12:13], 0, v[4:5]
	v_mad_u64_u32 v[14:15], s[2:3], v11, v1, 0
	v_add_co_u32_e32 v1, vcc, v4, v14
	v_mad_u64_u32 v[12:13], s[2:3], v11, v7, 0
	s_nop 0
	v_addc_co_u32_e32 v4, vcc, v5, v15, vcc
	v_mov_b32_e32 v5, v6
	s_nop 0
	v_addc_co_u32_e32 v13, vcc, 0, v13, vcc
	v_lshl_add_u64 v[4:5], v[4:5], 0, v[12:13]
	v_mul_lo_u32 v1, s29, v4
	v_mul_lo_u32 v7, s28, v5
	v_mad_u64_u32 v[12:13], s[2:3], s28, v4, 0
	v_add3_u32 v1, v13, v7, v1
	v_sub_u32_e32 v7, v11, v1
	v_mov_b32_e32 v13, s29
	v_sub_co_u32_e32 v16, vcc, v10, v12
	v_lshl_add_u64 v[14:15], v[4:5], 0, 1
	s_nop 0
	v_subb_co_u32_e64 v7, s[2:3], v7, v13, vcc
	v_subrev_co_u32_e64 v12, s[2:3], s28, v16
	v_subb_co_u32_e32 v1, vcc, v11, v1, vcc
	s_nop 0
	v_subbrev_co_u32_e64 v7, s[2:3], 0, v7, s[2:3]
	v_cmp_le_u32_e64 s[2:3], s29, v7
	v_cmp_le_u32_e32 vcc, s29, v1
	s_nop 0
	v_cndmask_b32_e64 v13, 0, -1, s[2:3]
	v_cmp_le_u32_e64 s[2:3], s28, v12
	s_nop 1
	v_cndmask_b32_e64 v12, 0, -1, s[2:3]
	v_cmp_eq_u32_e64 s[2:3], s29, v7
	s_nop 1
	v_cndmask_b32_e64 v7, v13, v12, s[2:3]
	v_lshl_add_u64 v[12:13], v[4:5], 0, 2
	v_cmp_ne_u32_e64 s[2:3], 0, v7
	s_nop 1
	v_cndmask_b32_e64 v7, v15, v13, s[2:3]
	v_cndmask_b32_e64 v13, 0, -1, vcc
	v_cmp_le_u32_e32 vcc, s28, v16
	s_nop 1
	v_cndmask_b32_e64 v15, 0, -1, vcc
	v_cmp_eq_u32_e32 vcc, s29, v1
	s_nop 1
	v_cndmask_b32_e32 v1, v13, v15, vcc
	v_cmp_ne_u32_e32 vcc, 0, v1
	v_cndmask_b32_e64 v1, v14, v12, s[2:3]
	s_nop 0
	v_cndmask_b32_e32 v5, v5, v7, vcc
	v_cndmask_b32_e32 v4, v4, v1, vcc
.LBB0_4:                                ;   in Loop: Header=BB0_2 Depth=1
	s_andn2_saveexec_b64 s[2:3], s[30:31]
	s_cbranch_execz .LBB0_6
; %bb.5:                                ;   in Loop: Header=BB0_2 Depth=1
	v_cvt_f32_u32_e32 v1, s28
	s_sub_i32 s30, 0, s28
	v_rcp_iflag_f32_e32 v1, v1
	s_nop 0
	v_mul_f32_e32 v1, 0x4f7ffffe, v1
	v_cvt_u32_f32_e32 v1, v1
	v_mul_lo_u32 v4, s30, v1
	v_mul_hi_u32 v4, v1, v4
	v_add_u32_e32 v1, v1, v4
	v_mul_hi_u32 v1, v10, v1
	v_mul_lo_u32 v4, v1, s28
	v_sub_u32_e32 v4, v10, v4
	v_add_u32_e32 v5, 1, v1
	v_subrev_u32_e32 v7, s28, v4
	v_cmp_le_u32_e32 vcc, s28, v4
	s_nop 1
	v_cndmask_b32_e32 v4, v4, v7, vcc
	v_cndmask_b32_e32 v1, v1, v5, vcc
	v_add_u32_e32 v5, 1, v1
	v_cmp_le_u32_e32 vcc, s28, v4
	s_nop 1
	v_cndmask_b32_e32 v4, v1, v5, vcc
	v_mov_b32_e32 v5, v6
.LBB0_6:                                ;   in Loop: Header=BB0_2 Depth=1
	s_or_b64 exec, exec, s[2:3]
	v_mad_u64_u32 v[12:13], s[2:3], v4, s28, 0
	s_load_dwordx2 s[2:3], s[22:23], 0x0
	v_mul_lo_u32 v1, v5, s28
	v_mul_lo_u32 v7, v4, s29
	s_load_dwordx2 s[28:29], s[20:21], 0x0
	s_add_u32 s26, s26, 1
	v_add3_u32 v1, v13, v7, v1
	v_sub_co_u32_e32 v7, vcc, v10, v12
	s_addc_u32 s27, s27, 0
	s_nop 0
	v_subb_co_u32_e32 v1, vcc, v11, v1, vcc
	s_add_u32 s20, s20, 8
	s_waitcnt lgkmcnt(0)
	v_mul_lo_u32 v10, s2, v1
	v_mul_lo_u32 v11, s3, v7
	v_mad_u64_u32 v[8:9], s[2:3], s2, v7, v[8:9]
	s_addc_u32 s21, s21, 0
	v_add3_u32 v9, v11, v9, v10
	v_mul_lo_u32 v1, s28, v1
	v_mul_lo_u32 v10, s29, v7
	v_mad_u64_u32 v[2:3], s[2:3], s28, v7, v[2:3]
	s_add_u32 s22, s22, 8
	v_add3_u32 v3, v10, v3, v1
	s_addc_u32 s23, s23, 0
	v_mov_b64_e32 v[10:11], s[6:7]
	s_add_u32 s24, s24, 8
	v_cmp_ge_u64_e32 vcc, s[26:27], v[10:11]
	s_addc_u32 s25, s25, 0
	s_cbranch_vccnz .LBB0_9
; %bb.7:                                ;   in Loop: Header=BB0_2 Depth=1
	v_mov_b64_e32 v[10:11], v[4:5]
	s_branch .LBB0_2
.LBB0_8:
	v_mov_b64_e32 v[2:3], v[8:9]
	v_mov_b64_e32 v[4:5], v[10:11]
.LBB0_9:
	s_load_dwordx2 s[0:1], s[0:1], 0x28
	s_lshl_b64 s[6:7], s[6:7], 3
	s_add_u32 s2, s14, s6
	s_addc_u32 s3, s15, s7
                                        ; implicit-def: $vgpr6_vgpr7
                                        ; implicit-def: $sgpr14
                                        ; implicit-def: $vgpr10
                                        ; implicit-def: $vgpr1
                                        ; implicit-def: $vgpr11
                                        ; implicit-def: $vgpr12
                                        ; implicit-def: $vgpr13
                                        ; implicit-def: $vgpr16
                                        ; implicit-def: $vgpr14
                                        ; implicit-def: $vgpr18
	s_waitcnt lgkmcnt(0)
	v_cmp_gt_u64_e32 vcc, s[0:1], v[4:5]
	v_cmp_le_u64_e64 s[0:1], s[0:1], v[4:5]
	s_and_saveexec_b64 s[20:21], s[0:1]
	s_xor_b64 s[0:1], exec, s[20:21]
	s_cbranch_execz .LBB0_11
; %bb.10:
	s_mov_b32 s14, 0x4104105
	v_mul_hi_u32 v1, v0, s14
	v_mul_u32_u24_e32 v1, 63, v1
	v_sub_u32_e32 v10, v0, v1
	v_add_u32_e32 v1, 63, v10
	v_add_u32_e32 v11, 0x7e, v10
	;; [unrolled: 1-line block ×9, first 2 shown]
	s_mov_b32 s14, 0
                                        ; implicit-def: $vgpr0
                                        ; implicit-def: $vgpr8_vgpr9
.LBB0_11:
	s_or_saveexec_b64 s[0:1], s[0:1]
	v_mov_b32_e32 v15, s14
	v_mov_b32_e32 v24, s14
	;; [unrolled: 1-line block ×10, first 2 shown]
                                        ; implicit-def: $vgpr33
                                        ; implicit-def: $vgpr21
                                        ; implicit-def: $vgpr48
                                        ; implicit-def: $vgpr20
                                        ; implicit-def: $vgpr47
                                        ; implicit-def: $vgpr19
                                        ; implicit-def: $vgpr46
                                        ; implicit-def: $vgpr17
                                        ; implicit-def: $vgpr45
                                        ; implicit-def: $vgpr27
                                        ; implicit-def: $vgpr44
                                        ; implicit-def: $vgpr29
                                        ; implicit-def: $vgpr43
                                        ; implicit-def: $vgpr26
                                        ; implicit-def: $vgpr41
                                        ; implicit-def: $vgpr25
                                        ; implicit-def: $vgpr39
                                        ; implicit-def: $vgpr30
                                        ; implicit-def: $vgpr40
                                        ; implicit-def: $vgpr32
	s_xor_b64 exec, exec, s[0:1]
	s_cbranch_execz .LBB0_13
; %bb.12:
	s_add_u32 s6, s12, s6
	s_addc_u32 s7, s13, s7
	s_load_dwordx2 s[6:7], s[6:7], 0x0
	s_mov_b32 s12, 0x4104105
	s_waitcnt lgkmcnt(0)
	v_mul_lo_u32 v1, s7, v4
	v_mul_lo_u32 v10, s6, v5
	v_mad_u64_u32 v[6:7], s[6:7], s6, v4, 0
	v_add3_u32 v7, v7, v10, v1
	v_mul_hi_u32 v1, v0, s12
	v_mul_u32_u24_e32 v1, 63, v1
	v_sub_u32_e32 v10, v0, v1
	v_mad_u64_u32 v[0:1], s[6:7], s18, v10, 0
	v_mov_b32_e32 v12, v1
	v_mad_u64_u32 v[12:13], s[6:7], s19, v10, v[12:13]
	v_lshl_add_u64 v[6:7], v[6:7], 2, s[8:9]
	v_mov_b32_e32 v1, v12
	v_lshl_add_u64 v[8:9], v[8:9], 2, v[6:7]
	v_add_u32_e32 v11, 0x276, v10
	v_lshl_add_u64 v[6:7], v[0:1], 2, v[8:9]
	v_mad_u64_u32 v[0:1], s[6:7], s18, v11, 0
	v_mov_b32_e32 v12, v1
	v_mad_u64_u32 v[12:13], s[6:7], s19, v11, v[12:13]
	v_mov_b32_e32 v1, v12
	v_lshl_add_u64 v[26:27], v[0:1], 2, v[8:9]
	v_add_u32_e32 v1, 63, v10
	v_mad_u64_u32 v[12:13], s[6:7], s18, v1, 0
	v_mov_b32_e32 v0, v13
	v_mad_u64_u32 v[14:15], s[6:7], s19, v1, v[0:1]
	v_mov_b32_e32 v13, v14
	v_add_u32_e32 v11, 0x2b5, v10
	v_lshl_add_u64 v[28:29], v[12:13], 2, v[8:9]
	v_mad_u64_u32 v[12:13], s[6:7], s18, v11, 0
	v_mov_b32_e32 v0, v13
	v_mad_u64_u32 v[14:15], s[6:7], s19, v11, v[0:1]
	v_mov_b32_e32 v13, v14
	v_add_u32_e32 v11, 0x7e, v10
	v_lshl_add_u64 v[30:31], v[12:13], 2, v[8:9]
	;; [unrolled: 6-line block ×3, first 2 shown]
	v_mad_u64_u32 v[12:13], s[6:7], s18, v14, 0
	v_mov_b32_e32 v0, v13
	v_mad_u64_u32 v[14:15], s[6:7], s19, v14, v[0:1]
	v_mov_b32_e32 v13, v14
	v_lshl_add_u64 v[34:35], v[12:13], 2, v[8:9]
	v_add_u32_e32 v12, 0xbd, v10
	v_mad_u64_u32 v[14:15], s[6:7], s18, v12, 0
	v_mov_b32_e32 v0, v15
	v_mad_u64_u32 v[16:17], s[6:7], s19, v12, v[0:1]
	v_mov_b32_e32 v15, v16
	v_add_u32_e32 v13, 0x333, v10
	v_lshl_add_u64 v[36:37], v[14:15], 2, v[8:9]
	v_mad_u64_u32 v[14:15], s[6:7], s18, v13, 0
	v_mov_b32_e32 v0, v15
	v_mad_u64_u32 v[16:17], s[6:7], s19, v13, v[0:1]
	v_mov_b32_e32 v15, v16
	v_add_u32_e32 v13, 0x372, v10
	v_lshl_add_u64 v[38:39], v[14:15], 2, v[8:9]
	global_load_dword v15, v[6:7], off
	global_load_dword v21, v[26:27], off
	;; [unrolled: 1-line block ×8, first 2 shown]
	v_mad_u64_u32 v[6:7], s[6:7], s18, v13, 0
	v_mov_b32_e32 v0, v7
	v_mad_u64_u32 v[26:27], s[6:7], s19, v13, v[0:1]
	v_mov_b32_e32 v7, v26
	v_lshl_add_u64 v[32:33], v[6:7], 2, v[8:9]
	v_add_u32_e32 v6, 0xfc, v10
	v_mad_u64_u32 v[26:27], s[6:7], s18, v6, 0
	v_mov_b32_e32 v0, v27
	v_mad_u64_u32 v[28:29], s[6:7], s19, v6, v[0:1]
	v_add_u32_e32 v7, 0x13b, v10
	v_mov_b32_e32 v27, v28
	v_lshl_add_u64 v[38:39], v[26:27], 2, v[8:9]
	v_mad_u64_u32 v[26:27], s[6:7], s18, v7, 0
	v_mov_b32_e32 v0, v27
	v_mad_u64_u32 v[28:29], s[6:7], s19, v7, v[0:1]
	v_mov_b32_e32 v27, v28
	v_add_u32_e32 v13, 0x3b1, v10
	v_lshl_add_u64 v[40:41], v[26:27], 2, v[8:9]
	v_mad_u64_u32 v[26:27], s[6:7], s18, v13, 0
	v_mov_b32_e32 v0, v27
	v_mad_u64_u32 v[28:29], s[6:7], s19, v13, v[0:1]
	v_mov_b32_e32 v27, v28
	v_add_u32_e32 v13, 0x17a, v10
	;; [unrolled: 6-line block ×6, first 2 shown]
	v_lshl_add_u64 v[50:51], v[26:27], 2, v[8:9]
	global_load_dword v27, v[32:33], off
	global_load_dword v37, v[38:39], off
	;; [unrolled: 1-line block ×8, first 2 shown]
	v_mad_u64_u32 v[32:33], s[6:7], s18, v14, 0
	v_mov_b32_e32 v0, v33
	v_mad_u64_u32 v[38:39], s[6:7], s19, v14, v[0:1]
	v_add_u32_e32 v18, 0x46e, v10
	v_mov_b32_e32 v33, v38
	v_mad_u64_u32 v[38:39], s[6:7], s18, v18, 0
	v_mov_b32_e32 v0, v39
	v_mad_u64_u32 v[40:41], s[6:7], s19, v18, v[0:1]
	v_lshl_add_u64 v[32:33], v[32:33], 2, v[8:9]
	v_mov_b32_e32 v39, v40
	v_add_u32_e32 v18, 0x237, v10
	v_lshl_add_u64 v[40:41], v[38:39], 2, v[8:9]
	global_load_dword v38, v[32:33], off
	global_load_dword v30, v[40:41], off
	v_mad_u64_u32 v[32:33], s[6:7], s18, v18, 0
	v_mov_b32_e32 v0, v33
	v_mad_u64_u32 v[40:41], s[6:7], s19, v18, v[0:1]
	v_mov_b32_e32 v33, v40
	v_add_u32_e32 v35, 0x4ad, v10
	v_lshl_add_u64 v[40:41], v[32:33], 2, v[8:9]
	v_mad_u64_u32 v[32:33], s[6:7], s18, v35, 0
	v_mov_b32_e32 v0, v33
	v_mad_u64_u32 v[42:43], s[6:7], s19, v35, v[0:1]
	v_mov_b32_e32 v33, v42
	v_lshl_add_u64 v[8:9], v[32:33], 2, v[8:9]
	global_load_dword v32, v[8:9], off
	global_load_dword v42, v[40:41], off
	s_waitcnt vmcnt(18)
	v_lshrrev_b32_e32 v33, 16, v21
	s_waitcnt vmcnt(16)
	v_lshrrev_b32_e32 v48, 16, v20
	;; [unrolled: 2-line block ×10, first 2 shown]
.LBB0_13:
	s_or_b64 exec, exec, s[0:1]
	v_lshrrev_b32_e32 v0, 16, v15
	v_sub_f16_e32 v8, v15, v21
	v_sub_f16_e32 v9, v0, v33
	v_fma_f16 v15, v15, 2.0, -v8
	v_fma_f16 v33, v0, 2.0, -v9
	v_sub_f16_e32 v0, v24, v20
	v_fma_f16 v20, v24, 2.0, -v0
	v_sub_f16_e32 v19, v23, v19
	v_lshl_add_u32 v55, v10, 2, 0
	v_pack_b32_f16 v8, v15, v8
	v_fma_f16 v21, v23, 2.0, -v19
	v_sub_f16_e32 v17, v22, v17
	ds_write_b32 v55, v8
	v_lshl_add_u32 v8, v1, 2, 0
	v_pack_b32_f16 v0, v20, v0
	v_fma_f16 v35, v22, 2.0, -v17
	v_sub_f16_e32 v27, v37, v27
	ds_write_b32 v8, v0
	;; [unrolled: 5-line block ×6, first 2 shown]
	v_lshl_add_u32 v87, v13, 2, 0
	v_pack_b32_f16 v0, v50, v26
	v_fma_f16 v52, v38, 2.0, -v30
	s_waitcnt vmcnt(0)
	v_sub_f16_e32 v32, v42, v32
	ds_write_b32 v87, v0
	v_lshl_add_u32 v56, v16, 2, 0
	v_pack_b32_f16 v0, v51, v25
	v_lshrrev_b32_e32 v24, 16, v24
	v_fma_f16 v53, v42, 2.0, -v32
	ds_write_b32 v56, v0
	v_lshlrev_b32_e32 v15, 1, v14
	v_lshl_add_u32 v14, v14, 2, 0
	v_pack_b32_f16 v0, v52, v30
	v_sub_f16_e32 v48, v24, v48
	v_lshlrev_b32_e32 v54, 1, v10
	v_lshlrev_b32_e32 v90, 1, v12
	;; [unrolled: 1-line block ×3, first 2 shown]
	ds_write_b32 v14, v0
	v_lshl_add_u32 v52, v18, 2, 0
	v_pack_b32_f16 v0, v53, v32
	v_fma_f16 v24, v24, 2.0, -v48
	v_lshlrev_b32_e32 v86, 1, v1
	v_lshlrev_b32_e32 v88, 1, v11
	;; [unrolled: 1-line block ×6, first 2 shown]
	ds_write_b32 v52, v0
	v_sub_u32_e32 v0, v55, v54
	v_sub_u32_e32 v94, v21, v90
	;; [unrolled: 1-line block ×3, first 2 shown]
	v_pack_b32_f16 v57, v33, v9
	v_pack_b32_f16 v24, v24, v48
	v_lshrrev_b32_e32 v23, 16, v23
	s_load_dwordx2 s[2:3], s[2:3], 0x0
	s_waitcnt lgkmcnt(0)
	; wave barrier
	s_waitcnt lgkmcnt(0)
	v_sub_u32_e32 v91, v8, v86
	v_sub_u32_e32 v53, v20, v88
	;; [unrolled: 1-line block ×4, first 2 shown]
	ds_read_u16 v80, v94
	ds_read_u16 v81, v95
	;; [unrolled: 1-line block ×4, first 2 shown]
	ds_read_u16 v35, v0 offset:1260
	ds_read_u16 v33, v0 offset:1386
	;; [unrolled: 1-line block ×7, first 2 shown]
	v_sub_u32_e32 v62, v56, v50
	v_sub_u32_e32 v63, v14, v15
	ds_read_u16 v27, v0 offset:2142
	ds_read_u16 v25, v0 offset:2268
	v_sub_u32_e32 v64, v52, v51
	ds_read_u16 v83, v60
	ds_read_u16 v84, v62
	;; [unrolled: 1-line block ×6, first 2 shown]
	ds_read_u16 v36, v0 offset:2394
	s_waitcnt lgkmcnt(0)
	; wave barrier
	s_waitcnt lgkmcnt(0)
	ds_write_b32 v55, v57
	ds_write_b32 v8, v24
	v_sub_f16_e32 v24, v23, v47
	v_fma_f16 v23, v23, 2.0, -v24
	v_pack_b32_f16 v23, v23, v24
	v_lshrrev_b32_e32 v22, 16, v22
	ds_write_b32 v20, v23
	v_sub_f16_e32 v23, v22, v46
	v_fma_f16 v22, v22, 2.0, -v23
	v_pack_b32_f16 v22, v22, v23
	ds_write_b32 v21, v22
	v_lshrrev_b32_e32 v22, 16, v37
	v_sub_f16_e32 v23, v22, v45
	v_fma_f16 v22, v22, 2.0, -v23
	v_pack_b32_f16 v22, v22, v23
	ds_write_b32 v17, v22
	v_lshrrev_b32_e32 v22, 16, v34
	;; [unrolled: 5-line block ×5, first 2 shown]
	v_sub_f16_e32 v23, v22, v39
	v_fma_f16 v22, v22, 2.0, -v23
	v_pack_b32_f16 v22, v22, v23
	v_lshrrev_b32_e32 v23, 16, v42
	v_sub_f16_e32 v24, v23, v40
	v_fma_f16 v23, v23, 2.0, -v24
	ds_write_b32 v14, v22
	v_pack_b32_f16 v22, v23, v24
	v_and_b32_e32 v23, 1, v10
	ds_write_b32 v52, v22
	v_lshlrev_b32_e32 v22, 2, v23
	s_waitcnt lgkmcnt(0)
	; wave barrier
	s_waitcnt lgkmcnt(0)
	global_load_dword v22, v22, s[4:5]
	v_and_b32_e32 v24, 1, v1
	v_lshlrev_b32_e32 v28, 2, v24
	global_load_dword v57, v28, s[4:5]
	v_and_b32_e32 v34, 1, v12
	v_lshlrev_b32_e32 v28, 2, v34
	global_load_dword v58, v28, s[4:5]
	v_and_b32_e32 v37, 1, v7
	v_lshlrev_b32_e32 v28, 2, v37
	global_load_dword v59, v28, s[4:5]
	v_and_b32_e32 v38, 1, v16
	v_and_b32_e32 v18, 1, v18
	v_lshlrev_b32_e32 v39, 2, v38
	ds_read_u16 v56, v60
	ds_read_u16 v55, v62
	ds_read_u16 v31, v63
	ds_read_u16 v28, v64
	v_lshlrev_b32_e32 v40, 2, v18
	global_load_dword v60, v39, s[4:5]
	global_load_dword v16, v40, s[4:5]
	ds_read_u16 v71, v0 offset:1260
	ds_read_u16 v70, v0 offset:1386
	;; [unrolled: 1-line block ×7, first 2 shown]
	ds_read_u16 v63, v0
	s_movk_i32 s0, 0x7c
	v_and_or_b32 v41, v54, s0, v23
	v_lshl_add_u32 v75, v41, 1, 0
	s_movk_i32 s0, 0xfc
	v_and_or_b32 v24, v86, s0, v24
	s_movk_i32 s0, 0x1fc
	v_and_or_b32 v34, v90, s0, v34
	;; [unrolled: 2-line block ×3, first 2 shown]
	s_waitcnt vmcnt(5) lgkmcnt(7)
	v_mul_f16_sdwa v39, v71, v22 dst_sel:DWORD dst_unused:UNUSED_PAD src0_sel:DWORD src1_sel:WORD_1
	v_fma_f16 v39, v35, v22, v39
	v_sub_f16_e32 v39, v61, v39
	v_fma_f16 v40, v61, 2.0, -v39
	ds_read_u16 v64, v94
	ds_read_u16 v62, v95
	ds_read_u16 v61, v96
	ds_read_u16 v76, v0 offset:2142
	ds_read_u16 v74, v0 offset:2268
	ds_read_u16 v72, v53
	ds_read_u16 v73, v91
	ds_read_u16 v77, v0 offset:2394
	s_waitcnt lgkmcnt(0)
	; wave barrier
	s_waitcnt lgkmcnt(0)
	ds_write_b16 v75, v40
	ds_write_b16 v75, v39 offset:4
	s_waitcnt vmcnt(4)
	v_mul_f16_sdwa v39, v70, v57 dst_sel:DWORD dst_unused:UNUSED_PAD src0_sel:DWORD src1_sel:WORD_1
	v_fma_f16 v39, v33, v57, v39
	v_sub_f16_e32 v39, v78, v39
	v_fma_f16 v40, v78, 2.0, -v39
	v_lshl_add_u32 v78, v24, 1, 0
	v_mul_f16_sdwa v24, v69, v22 dst_sel:DWORD dst_unused:UNUSED_PAD src0_sel:DWORD src1_sel:WORD_1
	v_fma_f16 v24, v32, v22, v24
	ds_write_b16 v78, v40
	ds_write_b16 v78, v39 offset:4
	v_sub_f16_e32 v24, v79, v24
	v_and_or_b32 v40, v88, s0, v23
	v_fma_f16 v39, v79, 2.0, -v24
	v_lshl_add_u32 v79, v40, 1, 0
	ds_write_b16 v79, v39
	ds_write_b16 v79, v24 offset:4
	s_waitcnt vmcnt(3)
	v_mul_f16_sdwa v24, v68, v58 dst_sel:DWORD dst_unused:UNUSED_PAD src0_sel:DWORD src1_sel:WORD_1
	v_fma_f16 v24, v30, v58, v24
	v_sub_f16_e32 v24, v80, v24
	v_fma_f16 v39, v80, 2.0, -v24
	v_lshl_add_u32 v80, v34, 1, 0
	ds_write_b16 v80, v39
	ds_write_b16 v80, v24 offset:4
	v_mul_f16_sdwa v24, v67, v22 dst_sel:DWORD dst_unused:UNUSED_PAD src0_sel:DWORD src1_sel:WORD_1
	v_fma_f16 v24, v29, v22, v24
	s_movk_i32 s0, 0x3fc
	v_sub_f16_e32 v24, v81, v24
	v_and_or_b32 v39, v92, s0, v23
	v_fma_f16 v34, v81, 2.0, -v24
	v_lshl_add_u32 v81, v39, 1, 0
	ds_write_b16 v81, v34
	ds_write_b16 v81, v24 offset:4
	s_waitcnt vmcnt(2)
	v_mul_f16_sdwa v24, v66, v59 dst_sel:DWORD dst_unused:UNUSED_PAD src0_sel:DWORD src1_sel:WORD_1
	v_fma_f16 v24, v26, v59, v24
	v_sub_f16_e32 v24, v82, v24
	v_fma_f16 v34, v82, 2.0, -v24
	v_lshl_add_u32 v82, v37, 1, 0
	ds_write_b16 v82, v34
	ds_write_b16 v82, v24 offset:4
	v_mul_f16_sdwa v24, v65, v22 dst_sel:DWORD dst_unused:UNUSED_PAD src0_sel:DWORD src1_sel:WORD_1
	v_fma_f16 v24, v9, v22, v24
	v_sub_f16_e32 v24, v83, v24
	v_and_or_b32 v37, v49, s0, v23
	v_fma_f16 v34, v83, 2.0, -v24
	v_lshl_add_u32 v83, v37, 1, 0
	ds_write_b16 v83, v34
	ds_write_b16 v83, v24 offset:4
	s_waitcnt vmcnt(1)
	v_mul_f16_sdwa v34, v76, v60 dst_sel:DWORD dst_unused:UNUSED_PAD src0_sel:DWORD src1_sel:WORD_1
	v_fma_f16 v34, v27, v60, v34
	v_and_or_b32 v24, v50, s0, v38
	v_sub_f16_e32 v34, v84, v34
	v_fma_f16 v37, v84, 2.0, -v34
	v_lshl_add_u32 v84, v24, 1, 0
	v_mul_f16_sdwa v24, v74, v22 dst_sel:DWORD dst_unused:UNUSED_PAD src0_sel:DWORD src1_sel:WORD_1
	v_fma_f16 v24, v25, v22, v24
	s_movk_i32 s0, 0x7fc
	v_sub_f16_e32 v24, v85, v24
	v_and_or_b32 v23, v15, s0, v23
	ds_write_b16 v84, v37
	ds_write_b16 v84, v34 offset:4
	v_fma_f16 v34, v85, 2.0, -v24
	v_lshl_add_u32 v85, v23, 1, 0
	s_waitcnt vmcnt(0)
	v_mul_f16_sdwa v23, v77, v16 dst_sel:DWORD dst_unused:UNUSED_PAD src0_sel:DWORD src1_sel:WORD_1
	s_movk_i32 s0, 0x4fc
	v_fma_f16 v23, v36, v16, v23
	ds_write_b16 v85, v34
	ds_write_b16 v85, v24 offset:4
	v_and_or_b32 v24, v51, s0, v18
	v_sub_f16_e32 v40, v89, v23
	v_fma_f16 v23, v89, 2.0, -v40
	v_lshl_add_u32 v89, v24, 1, 0
	v_sub_u32_e32 v18, 0, v49
	ds_write_b16 v89, v23
	ds_write_b16 v89, v40 offset:4
	s_waitcnt lgkmcnt(0)
	; wave barrier
	s_waitcnt lgkmcnt(0)
	ds_read_u16 v38, v53
	ds_read_u16 v37, v94
	;; [unrolled: 1-line block ×5, first 2 shown]
	ds_read_u16 v53, v0 offset:840
	ds_read_u16 v50, v0 offset:966
	;; [unrolled: 1-line block ×11, first 2 shown]
	ds_read_u16 v41, v91
	ds_read_u16 v45, v0 offset:2310
	v_add_u32_e32 v18, v87, v18
	v_sub_u32_e32 v87, 0, v86
	v_sub_u32_e32 v86, 0, v88
	;; [unrolled: 1-line block ×5, first 2 shown]
	v_cmp_gt_u32_e64 s[0:1], 42, v10
                                        ; implicit-def: $vgpr51
	s_and_saveexec_b64 s[6:7], s[0:1]
	s_cbranch_execz .LBB0_15
; %bb.14:
	ds_read_u16 v40, v0 offset:1596
	ds_read_u16 v23, v18
	ds_read_u16 v51, v0 offset:2436
.LBB0_15:
	s_or_b64 exec, exec, s[6:7]
	v_mul_f16_sdwa v35, v35, v22 dst_sel:DWORD dst_unused:UNUSED_PAD src0_sel:DWORD src1_sel:WORD_1
	v_mul_f16_sdwa v32, v32, v22 dst_sel:DWORD dst_unused:UNUSED_PAD src0_sel:DWORD src1_sel:WORD_1
	;; [unrolled: 1-line block ×5, first 2 shown]
	v_fma_f16 v35, v71, v22, -v35
	v_mul_f16_sdwa v33, v33, v57 dst_sel:DWORD dst_unused:UNUSED_PAD src0_sel:DWORD src1_sel:WORD_1
	v_fma_f16 v32, v69, v22, -v32
	v_mul_f16_sdwa v30, v30, v58 dst_sel:DWORD dst_unused:UNUSED_PAD src0_sel:DWORD src1_sel:WORD_1
	;; [unrolled: 2-line block ×5, first 2 shown]
	v_fma_f16 v33, v70, v57, -v33
	v_fma_f16 v30, v68, v58, -v30
	;; [unrolled: 1-line block ×5, first 2 shown]
	v_sub_f16_e32 v35, v63, v35
	v_sub_f16_e32 v29, v62, v29
	v_fma_f16 v36, v63, 2.0, -v35
	v_sub_f16_e32 v33, v73, v33
	v_sub_f16_e32 v32, v72, v32
	;; [unrolled: 1-line block ×3, first 2 shown]
	v_fma_f16 v60, v62, 2.0, -v29
	v_sub_f16_e32 v26, v61, v26
	v_sub_f16_e32 v9, v56, v9
	;; [unrolled: 1-line block ×5, first 2 shown]
	v_fma_f16 v57, v73, 2.0, -v33
	v_fma_f16 v58, v72, 2.0, -v32
	;; [unrolled: 1-line block ×8, first 2 shown]
	s_waitcnt lgkmcnt(0)
	; wave barrier
	s_waitcnt lgkmcnt(0)
	ds_write_b16 v75, v36
	ds_write_b16 v75, v35 offset:4
	ds_write_b16 v78, v57
	ds_write_b16 v78, v33 offset:4
	;; [unrolled: 2-line block ×10, first 2 shown]
	v_add_u32_e32 v9, v8, v87
	v_add_u32_e32 v8, v20, v86
	s_waitcnt lgkmcnt(0)
	; wave barrier
	s_waitcnt lgkmcnt(0)
	v_add_u32_e32 v16, v21, v91
	ds_read_u16 v28, v8
	ds_read_u16 v20, v16
	;; [unrolled: 1-line block ×3, first 2 shown]
	ds_read_u16 v59, v0 offset:840
	ds_read_u16 v56, v0 offset:966
	;; [unrolled: 1-line block ×9, first 2 shown]
	v_add_u32_e32 v17, v17, v90
	v_add_u32_e32 v21, v19, v88
	ds_read_u16 v31, v17
	ds_read_u16 v27, v21
	ds_read_u16 v61, v0 offset:1680
	ds_read_u16 v19, v0 offset:1470
	ds_read_u16 v35, v9
	ds_read_u16 v58, v0 offset:2310
                                        ; implicit-def: $vgpr77
	s_and_saveexec_b64 s[6:7], s[0:1]
	s_cbranch_execz .LBB0_17
; %bb.16:
	ds_read_u16 v25, v0 offset:1596
	ds_read_u16 v22, v18
	ds_read_u16 v77, v0 offset:2436
.LBB0_17:
	s_or_b64 exec, exec, s[6:7]
	v_and_b32_e32 v88, 3, v10
	v_lshlrev_b32_e32 v36, 3, v88
	v_and_b32_e32 v89, 3, v1
	global_load_dwordx2 v[78:79], v36, s[4:5] offset:8
	v_lshlrev_b32_e32 v36, 3, v89
	v_and_b32_e32 v90, 3, v11
	global_load_dwordx2 v[62:63], v36, s[4:5] offset:8
	;; [unrolled: 3-line block ×4, first 2 shown]
	v_lshlrev_b32_e32 v36, 3, v92
	global_load_dwordx2 v[84:85], v36, s[4:5] offset:8
	v_and_b32_e32 v36, 3, v13
	v_lshlrev_b32_e32 v64, 3, v36
	global_load_dwordx2 v[86:87], v64, s[4:5] offset:8
	s_mov_b32 s6, 0xbaee
	s_movk_i32 s7, 0x3aee
	s_waitcnt lgkmcnt(0)
	; wave barrier
	s_waitcnt vmcnt(5) lgkmcnt(0)
	v_mul_f16_sdwa v64, v59, v78 dst_sel:DWORD dst_unused:UNUSED_PAD src0_sel:DWORD src1_sel:WORD_1
	v_mul_f16_sdwa v66, v61, v79 dst_sel:DWORD dst_unused:UNUSED_PAD src0_sel:DWORD src1_sel:WORD_1
	;; [unrolled: 1-line block ×4, first 2 shown]
	s_waitcnt vmcnt(4)
	v_mul_f16_sdwa v68, v56, v62 dst_sel:DWORD dst_unused:UNUSED_PAD src0_sel:DWORD src1_sel:WORD_1
	v_mul_f16_sdwa v69, v50, v62 dst_sel:DWORD dst_unused:UNUSED_PAD src0_sel:DWORD src1_sel:WORD_1
	;; [unrolled: 1-line block ×3, first 2 shown]
	v_fma_f16 v72, v53, v78, v64
	v_fma_f16 v74, v54, v79, v66
	v_mul_f16_sdwa v73, v52, v63 dst_sel:DWORD dst_unused:UNUSED_PAD src0_sel:DWORD src1_sel:WORD_1
	s_waitcnt vmcnt(3)
	v_mul_f16_sdwa v94, v48, v80 dst_sel:DWORD dst_unused:UNUSED_PAD src0_sel:DWORD src1_sel:WORD_1
	s_waitcnt vmcnt(1)
	v_mul_f16_sdwa v106, v44, v84 dst_sel:DWORD dst_unused:UNUSED_PAD src0_sel:DWORD src1_sel:WORD_1
	v_mul_f16_sdwa v98, v46, v82 dst_sel:DWORD dst_unused:UNUSED_PAD src0_sel:DWORD src1_sel:WORD_1
	;; [unrolled: 1-line block ×3, first 2 shown]
	s_waitcnt vmcnt(0)
	v_mul_f16_sdwa v110, v40, v86 dst_sel:DWORD dst_unused:UNUSED_PAD src0_sel:DWORD src1_sel:WORD_1
	v_mul_f16_sdwa v104, v43, v79 dst_sel:DWORD dst_unused:UNUSED_PAD src0_sel:DWORD src1_sel:WORD_1
	;; [unrolled: 1-line block ×4, first 2 shown]
	v_fma_f16 v75, v59, v78, -v65
	v_fma_f16 v76, v61, v79, -v67
	v_fma_f16 v67, v50, v62, v68
	v_fma_f16 v71, v56, v62, -v69
	v_fma_f16 v69, v52, v63, v70
	v_fma_f16 v56, v19, v84, -v106
	v_fma_f16 v53, v25, v86, -v110
	v_add_f16_e32 v19, v39, v72
	v_add_f16_e32 v25, v72, v74
	v_mul_f16_sdwa v93, v32, v80 dst_sel:DWORD dst_unused:UNUSED_PAD src0_sel:DWORD src1_sel:WORD_1
	v_mul_f16_sdwa v97, v29, v82 dst_sel:DWORD dst_unused:UNUSED_PAD src0_sel:DWORD src1_sel:WORD_1
	;; [unrolled: 1-line block ×4, first 2 shown]
	v_fma_f16 v73, v60, v63, -v73
	v_fma_f16 v68, v32, v80, -v94
	;; [unrolled: 1-line block ×5, first 2 shown]
	v_sub_f16_e32 v26, v75, v76
	v_add_f16_e32 v29, v41, v67
	v_add_f16_e32 v30, v67, v69
	;; [unrolled: 1-line block ×3, first 2 shown]
	v_fma_f16 v19, v25, -0.5, v39
	v_mul_f16_sdwa v95, v57, v81 dst_sel:DWORD dst_unused:UNUSED_PAD src0_sel:DWORD src1_sel:WORD_1
	v_fma_f16 v63, v48, v80, v93
	v_add_f16_e32 v25, v29, v69
	v_fma_f16 v29, v30, -0.5, v41
	v_fma_f16 v30, v26, s6, v19
	v_fma_f16 v26, v26, s7, v19
	v_sub_f16_e32 v19, v71, v73
	v_mul_f16_sdwa v96, v49, v81 dst_sel:DWORD dst_unused:UNUSED_PAD src0_sel:DWORD src1_sel:WORD_1
	v_fma_f16 v65, v49, v81, v95
	v_fma_f16 v39, v19, s6, v29
	;; [unrolled: 1-line block ×3, first 2 shown]
	v_add_f16_e32 v19, v38, v63
	v_fma_f16 v70, v57, v81, -v96
	v_fma_f16 v49, v40, v86, v109
	v_add_f16_e32 v40, v19, v65
	v_add_f16_e32 v19, v63, v65
	v_mul_f16_sdwa v99, v55, v83 dst_sel:DWORD dst_unused:UNUSED_PAD src0_sel:DWORD src1_sel:WORD_1
	v_fma_f16 v59, v46, v82, v97
	v_fma_f16 v19, v19, -0.5, v38
	v_sub_f16_e32 v38, v68, v70
	v_mul_f16_sdwa v100, v47, v83 dst_sel:DWORD dst_unused:UNUSED_PAD src0_sel:DWORD src1_sel:WORD_1
	v_fma_f16 v61, v47, v83, v99
	v_fma_f16 v41, v38, s6, v19
	;; [unrolled: 1-line block ×3, first 2 shown]
	v_add_f16_e32 v19, v37, v59
	v_fma_f16 v66, v55, v83, -v100
	v_fma_f16 v55, v42, v78, v101
	v_add_f16_e32 v42, v19, v61
	v_add_f16_e32 v19, v59, v61
	v_fma_f16 v19, v19, -0.5, v37
	v_sub_f16_e32 v37, v64, v66
	v_fma_f16 v57, v43, v79, v103
	v_fma_f16 v43, v37, s6, v19
	;; [unrolled: 1-line block ×3, first 2 shown]
	v_add_f16_e32 v19, v34, v55
	v_fma_f16 v52, v44, v84, v105
	v_add_f16_e32 v44, v19, v57
	v_add_f16_e32 v19, v55, v57
	v_mul_f16_sdwa v107, v58, v85 dst_sel:DWORD dst_unused:UNUSED_PAD src0_sel:DWORD src1_sel:WORD_1
	v_fma_f16 v19, v19, -0.5, v34
	v_sub_f16_e32 v34, v60, v62
	v_mul_f16_sdwa v108, v45, v85 dst_sel:DWORD dst_unused:UNUSED_PAD src0_sel:DWORD src1_sel:WORD_1
	v_fma_f16 v54, v45, v85, v107
	v_fma_f16 v45, v34, s6, v19
	;; [unrolled: 1-line block ×3, first 2 shown]
	v_add_f16_e32 v19, v24, v52
	v_mul_f16_sdwa v111, v77, v87 dst_sel:DWORD dst_unused:UNUSED_PAD src0_sel:DWORD src1_sel:WORD_1
	v_fma_f16 v58, v58, v85, -v108
	v_add_f16_e32 v46, v19, v54
	v_add_f16_e32 v19, v52, v54
	v_mul_f16_sdwa v112, v51, v87 dst_sel:DWORD dst_unused:UNUSED_PAD src0_sel:DWORD src1_sel:WORD_1
	v_fma_f16 v50, v51, v87, v111
	v_fma_f16 v19, v19, -0.5, v24
	v_sub_f16_e32 v24, v56, v58
	v_fma_f16 v51, v77, v87, -v112
	v_fma_f16 v47, v24, s6, v19
	v_fma_f16 v48, v24, s7, v19
	v_add_f16_e32 v24, v49, v50
	v_add_f16_e32 v19, v23, v49
	v_fma_f16 v23, v24, -0.5, v23
	v_sub_f16_e32 v77, v53, v51
	v_fma_f16 v24, v77, s6, v23
	v_fma_f16 v23, v77, s7, v23
	v_lshrrev_b32_e32 v77, 2, v10
	v_mul_u32_u24_e32 v77, 12, v77
	v_or_b32_e32 v77, v77, v88
	v_lshl_add_u32 v77, v77, 1, 0
	ds_write_b16 v77, v32
	ds_write_b16 v77, v30 offset:8
	ds_write_b16 v77, v26 offset:16
	v_lshrrev_b32_e32 v26, 2, v1
	v_mul_lo_u32 v26, v26, 12
	v_or_b32_e32 v26, v26, v89
	v_lshl_add_u32 v78, v26, 1, 0
	ds_write_b16 v78, v25
	ds_write_b16 v78, v39 offset:8
	ds_write_b16 v78, v29 offset:16
	v_lshrrev_b32_e32 v25, 2, v11
	v_mul_lo_u32 v25, v25, 12
	v_or_b32_e32 v25, v25, v90
	v_lshl_add_u32 v79, v25, 1, 0
	v_lshrrev_b32_e32 v25, 2, v12
	v_mul_lo_u32 v25, v25, 12
	v_or_b32_e32 v25, v25, v91
	v_lshl_add_u32 v80, v25, 1, 0
	;; [unrolled: 4-line block ×3, first 2 shown]
	v_lshrrev_b32_e32 v25, 2, v7
	v_mul_lo_u32 v25, v25, 12
	v_or_b32_e32 v25, v25, v92
	v_add_f16_e32 v19, v19, v50
	v_lshl_add_u32 v83, v25, 1, 0
	v_lshrrev_b32_e32 v82, 2, v13
	ds_write_b16 v79, v40
	ds_write_b16 v79, v41 offset:8
	ds_write_b16 v79, v38 offset:16
	ds_write_b16 v80, v42
	ds_write_b16 v80, v43 offset:8
	ds_write_b16 v80, v37 offset:16
	;; [unrolled: 3-line block ×4, first 2 shown]
	s_and_saveexec_b64 s[6:7], s[0:1]
	s_cbranch_execz .LBB0_19
; %bb.18:
	v_mul_lo_u32 v25, v82, 12
	v_or_b32_e32 v25, v25, v36
	v_lshl_add_u32 v25, v25, 1, 0
	ds_write_b16 v25, v19
	ds_write_b16 v25, v24 offset:8
	ds_write_b16 v25, v23 offset:16
.LBB0_19:
	s_or_b64 exec, exec, s[6:7]
	s_waitcnt lgkmcnt(0)
	; wave barrier
	s_waitcnt lgkmcnt(0)
	ds_read_u16 v29, v8
	ds_read_u16 v25, v16
	ds_read_u16 v32, v0
	ds_read_u16 v46, v0 offset:840
	ds_read_u16 v44, v0 offset:966
	;; [unrolled: 1-line block ×9, first 2 shown]
	ds_read_u16 v30, v17
	ds_read_u16 v26, v21
	ds_read_u16 v48, v0 offset:1680
	ds_read_u16 v38, v0 offset:1470
	ds_read_u16 v34, v9
	ds_read_u16 v37, v0 offset:2310
	s_and_saveexec_b64 s[6:7], s[0:1]
	s_cbranch_execz .LBB0_21
; %bb.20:
	ds_read_u16 v24, v0 offset:1596
	ds_read_u16 v19, v18
	ds_read_u16 v23, v0 offset:2436
.LBB0_21:
	s_or_b64 exec, exec, s[6:7]
	v_add_f16_e32 v84, v33, v75
	v_add_f16_e32 v75, v75, v76
	v_fma_f16 v33, v75, -0.5, v33
	v_sub_f16_e32 v72, v72, v74
	s_movk_i32 s6, 0x3aee
	s_mov_b32 s7, 0xbaee
	v_fma_f16 v74, v72, s6, v33
	v_fma_f16 v33, v72, s7, v33
	v_add_f16_e32 v72, v35, v71
	v_add_f16_e32 v71, v71, v73
	v_fma_f16 v35, v71, -0.5, v35
	v_sub_f16_e32 v67, v67, v69
	v_fma_f16 v69, v67, s6, v35
	v_fma_f16 v67, v67, s7, v35
	v_add_f16_e32 v35, v28, v68
	v_add_f16_e32 v71, v35, v70
	v_add_f16_e32 v35, v68, v70
	v_fma_f16 v28, v35, -0.5, v28
	v_sub_f16_e32 v35, v63, v65
	v_fma_f16 v63, v35, s6, v28
	v_fma_f16 v28, v35, s7, v28
	v_add_f16_e32 v35, v20, v64
	;; [unrolled: 7-line block ×4, first 2 shown]
	v_add_f16_e32 v57, v20, v58
	v_add_f16_e32 v20, v56, v58
	v_fma_f16 v20, v20, -0.5, v27
	v_sub_f16_e32 v27, v52, v54
	v_add_f16_e32 v35, v53, v51
	v_fma_f16 v52, v27, s6, v20
	v_fma_f16 v27, v27, s7, v20
	v_add_f16_e32 v20, v22, v53
	v_fma_f16 v22, v35, -0.5, v22
	v_sub_f16_e32 v35, v49, v50
	v_add_f16_e32 v84, v84, v76
	v_add_f16_e32 v20, v20, v51
	v_fma_f16 v49, v35, s6, v22
	v_fma_f16 v35, v35, s7, v22
	v_add_f16_e32 v72, v72, v73
	s_waitcnt lgkmcnt(0)
	; wave barrier
	s_waitcnt lgkmcnt(0)
	ds_write_b16 v77, v84
	ds_write_b16 v77, v74 offset:8
	ds_write_b16 v77, v33 offset:16
	ds_write_b16 v78, v72
	ds_write_b16 v78, v69 offset:8
	ds_write_b16 v78, v67 offset:16
	;; [unrolled: 3-line block ×6, first 2 shown]
	s_and_saveexec_b64 s[6:7], s[0:1]
	s_cbranch_execz .LBB0_23
; %bb.22:
	v_mul_lo_u32 v22, v82, 12
	v_or_b32_e32 v22, v22, v36
	v_lshl_add_u32 v22, v22, 1, 0
	ds_write_b16 v22, v20
	ds_write_b16 v22, v49 offset:8
	ds_write_b16 v22, v35 offset:16
.LBB0_23:
	s_or_b64 exec, exec, s[6:7]
	s_waitcnt lgkmcnt(0)
	; wave barrier
	s_waitcnt lgkmcnt(0)
	ds_read_u16 v27, v8
	ds_read_u16 v22, v16
	;; [unrolled: 1-line block ×3, first 2 shown]
	ds_read_u16 v58, v0 offset:840
	ds_read_u16 v56, v0 offset:966
	;; [unrolled: 1-line block ×9, first 2 shown]
	ds_read_u16 v28, v17
	ds_read_u16 v21, v21
	ds_read_u16 v60, v0 offset:1680
	ds_read_u16 v50, v0 offset:1470
	ds_read_u16 v33, v9
	ds_read_u16 v36, v0 offset:2310
	s_and_saveexec_b64 s[6:7], s[0:1]
	s_cbranch_execz .LBB0_25
; %bb.24:
	ds_read_u16 v49, v0 offset:1596
	ds_read_u16 v20, v18
	ds_read_u16 v35, v0 offset:2436
.LBB0_25:
	s_or_b64 exec, exec, s[6:7]
	s_movk_i32 s6, 0xab
	v_mul_lo_u16_sdwa v18, v10, s6 dst_sel:DWORD dst_unused:UNUSED_PAD src0_sel:BYTE_0 src1_sel:DWORD
	v_mul_lo_u16_sdwa v63, v1, s6 dst_sel:DWORD dst_unused:UNUSED_PAD src0_sel:BYTE_0 src1_sel:DWORD
	v_lshrrev_b16_e32 v78, 11, v18
	v_lshrrev_b16_e32 v79, 11, v63
	v_mul_lo_u16_sdwa v64, v11, s6 dst_sel:DWORD dst_unused:UNUSED_PAD src0_sel:BYTE_0 src1_sel:DWORD
	v_mul_lo_u16_sdwa v67, v12, s6 dst_sel:DWORD dst_unused:UNUSED_PAD src0_sel:BYTE_0 src1_sel:DWORD
	v_mul_lo_u16_e32 v18, 12, v78
	v_mul_lo_u16_e32 v63, 12, v79
	v_lshrrev_b16_e32 v80, 11, v64
	v_lshrrev_b16_e32 v82, 11, v67
	v_sub_u16_e32 v18, v10, v18
	v_mov_b32_e32 v61, 3
	v_sub_u16_e32 v63, v1, v63
	v_mul_lo_u16_e32 v64, 12, v80
	v_mul_lo_u16_e32 v68, 12, v82
	v_lshlrev_b32_sdwa v62, v61, v18 dst_sel:DWORD dst_unused:UNUSED_PAD src0_sel:DWORD src1_sel:BYTE_0
	v_lshlrev_b32_sdwa v66, v61, v63 dst_sel:DWORD dst_unused:UNUSED_PAD src0_sel:DWORD src1_sel:BYTE_0
	v_sub_u16_e32 v81, v11, v64
	v_sub_u16_e32 v83, v12, v68
	global_load_dwordx2 v[64:65], v62, s[4:5] offset:40
	s_mov_b32 s6, 0xaaab
	global_load_dwordx2 v[66:67], v66, s[4:5] offset:40
	v_lshlrev_b32_sdwa v62, v61, v81 dst_sel:DWORD dst_unused:UNUSED_PAD src0_sel:DWORD src1_sel:BYTE_0
	v_lshlrev_b32_sdwa v61, v61, v83 dst_sel:DWORD dst_unused:UNUSED_PAD src0_sel:DWORD src1_sel:BYTE_0
	global_load_dwordx2 v[68:69], v62, s[4:5] offset:40
	global_load_dwordx2 v[70:71], v61, s[4:5] offset:40
	v_mul_u32_u24_sdwa v61, v6, s6 dst_sel:DWORD dst_unused:UNUSED_PAD src0_sel:WORD_0 src1_sel:DWORD
	v_lshrrev_b32_e32 v84, 19, v61
	v_mul_lo_u16_e32 v61, 12, v84
	v_sub_u16_e32 v6, v6, v61
	v_lshlrev_b32_e32 v61, 3, v6
	global_load_dwordx2 v[72:73], v61, s[4:5] offset:40
	v_mul_u32_u24_sdwa v61, v7, s6 dst_sel:DWORD dst_unused:UNUSED_PAD src0_sel:WORD_0 src1_sel:DWORD
	v_lshrrev_b32_e32 v85, 19, v61
	v_mul_lo_u16_e32 v61, 12, v85
	v_sub_u16_e32 v86, v7, v61
	v_lshlrev_b32_e32 v7, 3, v86
	;; [unrolled: 6-line block ×3, first 2 shown]
	global_load_dwordx2 v[76:77], v7, s[4:5] offset:40
	v_mov_b32_e32 v7, 1
	v_lshlrev_b32_e32 v91, 1, v6
	v_lshlrev_b32_sdwa v89, v7, v18 dst_sel:DWORD dst_unused:UNUSED_PAD src0_sel:DWORD src1_sel:BYTE_0
	v_sub_u32_e32 v13, 0, v15
	v_lshlrev_b32_sdwa v90, v7, v63 dst_sel:DWORD dst_unused:UNUSED_PAD src0_sel:DWORD src1_sel:BYTE_0
	v_lshlrev_b32_sdwa v81, v7, v81 dst_sel:DWORD dst_unused:UNUSED_PAD src0_sel:DWORD src1_sel:BYTE_0
	;; [unrolled: 1-line block ×3, first 2 shown]
	s_mov_b32 s8, 0xbaee
	s_movk_i32 s9, 0x3aee
	s_waitcnt lgkmcnt(0)
	; wave barrier
	s_waitcnt lgkmcnt(0)
	s_mov_b32 s7, 0x5040100
	s_movk_i32 s6, 0x48
	s_waitcnt vmcnt(6)
	v_mul_f16_sdwa v6, v58, v64 dst_sel:DWORD dst_unused:UNUSED_PAD src0_sel:DWORD src1_sel:WORD_1
	v_mul_f16_sdwa v18, v48, v65 dst_sel:DWORD dst_unused:UNUSED_PAD src0_sel:DWORD src1_sel:WORD_1
	v_fma_f16 v61, v46, v64, v6
	v_mul_f16_sdwa v15, v60, v65 dst_sel:DWORD dst_unused:UNUSED_PAD src0_sel:DWORD src1_sel:WORD_1
	s_waitcnt vmcnt(5)
	v_mul_f16_sdwa v92, v56, v66 dst_sel:DWORD dst_unused:UNUSED_PAD src0_sel:DWORD src1_sel:WORD_1
	s_waitcnt vmcnt(3)
	v_mul_f16_sdwa v100, v53, v70 dst_sel:DWORD dst_unused:UNUSED_PAD src0_sel:DWORD src1_sel:WORD_1
	v_mul_f16_sdwa v96, v54, v68 dst_sel:DWORD dst_unused:UNUSED_PAD src0_sel:DWORD src1_sel:WORD_1
	;; [unrolled: 1-line block ×4, first 2 shown]
	v_fma_f16 v60, v60, v65, -v18
	v_fma_f16 v18, v41, v70, v100
	s_waitcnt vmcnt(2)
	v_mul_f16_sdwa v6, v52, v73 dst_sel:DWORD dst_unused:UNUSED_PAD src0_sel:DWORD src1_sel:WORD_1
	v_fma_f16 v41, v40, v73, v6
	v_mul_f16_sdwa v6, v40, v73 dst_sel:DWORD dst_unused:UNUSED_PAD src0_sel:DWORD src1_sel:WORD_1
	v_mul_f16_sdwa v93, v44, v66 dst_sel:DWORD dst_unused:UNUSED_PAD src0_sel:DWORD src1_sel:WORD_1
	;; [unrolled: 1-line block ×4, first 2 shown]
	v_fma_f16 v62, v48, v65, v15
	v_fma_f16 v48, v44, v66, v92
	;; [unrolled: 1-line block ×4, first 2 shown]
	v_fma_f16 v43, v52, v73, -v6
	s_waitcnt vmcnt(1)
	v_mul_f16_sdwa v6, v50, v74 dst_sel:DWORD dst_unused:UNUSED_PAD src0_sel:DWORD src1_sel:WORD_1
	v_fma_f16 v15, v38, v74, v6
	v_mul_f16_sdwa v6, v38, v74 dst_sel:DWORD dst_unused:UNUSED_PAD src0_sel:DWORD src1_sel:WORD_1
	v_fma_f16 v38, v50, v74, -v6
	v_mul_f16_sdwa v6, v36, v75 dst_sel:DWORD dst_unused:UNUSED_PAD src0_sel:DWORD src1_sel:WORD_1
	v_fma_f16 v40, v37, v75, v6
	v_mul_f16_sdwa v6, v37, v75 dst_sel:DWORD dst_unused:UNUSED_PAD src0_sel:DWORD src1_sel:WORD_1
	v_fma_f16 v50, v36, v75, -v6
	s_waitcnt vmcnt(0)
	v_mul_f16_sdwa v6, v49, v76 dst_sel:DWORD dst_unused:UNUSED_PAD src0_sel:DWORD src1_sel:WORD_1
	v_fma_f16 v37, v24, v76, v6
	v_mul_f16_sdwa v6, v24, v76 dst_sel:DWORD dst_unused:UNUSED_PAD src0_sel:DWORD src1_sel:WORD_1
	v_fma_f16 v36, v49, v76, -v6
	v_mul_f16_sdwa v6, v35, v77 dst_sel:DWORD dst_unused:UNUSED_PAD src0_sel:DWORD src1_sel:WORD_1
	v_fma_f16 v24, v23, v77, v6
	v_mul_f16_sdwa v6, v23, v77 dst_sel:DWORD dst_unused:UNUSED_PAD src0_sel:DWORD src1_sel:WORD_1
	v_mul_f16_sdwa v7, v46, v64 dst_sel:DWORD dst_unused:UNUSED_PAD src0_sel:DWORD src1_sel:WORD_1
	;; [unrolled: 1-line block ×4, first 2 shown]
	v_fma_f16 v35, v35, v77, -v6
	v_add_f16_e32 v6, v32, v61
	v_fma_f16 v63, v58, v64, -v7
	v_fma_f16 v7, v39, v72, v104
	v_fma_f16 v39, v51, v72, -v105
	v_add_f16_e32 v51, v6, v62
	v_add_f16_e32 v6, v61, v62
	v_mul_f16_sdwa v94, v59, v67 dst_sel:DWORD dst_unused:UNUSED_PAD src0_sel:DWORD src1_sel:WORD_1
	v_fma_f16 v6, v6, -0.5, v32
	v_sub_f16_e32 v23, v63, v60
	v_mul_f16_sdwa v95, v47, v67 dst_sel:DWORD dst_unused:UNUSED_PAD src0_sel:DWORD src1_sel:WORD_1
	v_mul_f16_sdwa v98, v57, v69 dst_sel:DWORD dst_unused:UNUSED_PAD src0_sel:DWORD src1_sel:WORD_1
	v_fma_f16 v58, v56, v66, -v93
	v_fma_f16 v56, v47, v67, v94
	v_fma_f16 v32, v23, s8, v6
	;; [unrolled: 1-line block ×3, first 2 shown]
	v_add_f16_e32 v6, v34, v48
	v_mul_f16_sdwa v99, v45, v69 dst_sel:DWORD dst_unused:UNUSED_PAD src0_sel:DWORD src1_sel:WORD_1
	v_fma_f16 v59, v59, v67, -v95
	v_fma_f16 v46, v45, v69, v98
	v_fma_f16 v45, v53, v70, -v101
	v_add_f16_e32 v53, v6, v56
	v_add_f16_e32 v6, v48, v56
	v_fma_f16 v6, v6, -0.5, v34
	v_sub_f16_e32 v23, v58, v59
	v_fma_f16 v34, v23, s8, v6
	v_fma_f16 v64, v23, s9, v6
	v_add_f16_e32 v6, v29, v44
	v_fma_f16 v54, v54, v68, -v97
	v_fma_f16 v57, v57, v69, -v99
	v_add_f16_e32 v65, v6, v46
	v_add_f16_e32 v6, v44, v46
	v_fma_f16 v6, v6, -0.5, v29
	v_sub_f16_e32 v23, v54, v57
	v_fma_f16 v29, v23, s8, v6
	v_fma_f16 v66, v23, s9, v6
	v_add_f16_e32 v6, v25, v18
	v_fma_f16 v47, v55, v71, -v103
	v_add_f16_e32 v67, v6, v42
	v_add_f16_e32 v6, v18, v42
	v_fma_f16 v6, v6, -0.5, v25
	v_sub_f16_e32 v23, v45, v47
	v_mul_u32_u24_e32 v49, 0x48, v78
	v_fma_f16 v68, v23, s8, v6
	v_fma_f16 v69, v23, s9, v6
	v_add_f16_e32 v6, v30, v7
	v_add3_u32 v49, 0, v49, v89
	v_add_f16_e32 v70, v6, v41
	v_add_f16_e32 v6, v7, v41
	ds_write_b16 v49, v51
	ds_write_b16 v49, v32 offset:24
	ds_write_b16 v49, v52 offset:48
	v_mul_u32_u24_e32 v32, 0x48, v79
	v_fma_f16 v6, v6, -0.5, v30
	v_sub_f16_e32 v23, v39, v43
	v_add3_u32 v51, 0, v32, v90
	v_mul_u32_u24_e32 v32, 0x48, v80
	v_fma_f16 v30, v23, s8, v6
	v_fma_f16 v71, v23, s9, v6
	v_add_f16_e32 v6, v26, v15
	v_add3_u32 v52, 0, v32, v81
	v_add_f16_e32 v72, v6, v40
	v_add_f16_e32 v6, v15, v40
	ds_write_b16 v51, v53
	ds_write_b16 v51, v34 offset:24
	ds_write_b16 v51, v64 offset:48
	ds_write_b16 v52, v65
	ds_write_b16 v52, v29 offset:24
	ds_write_b16 v52, v66 offset:48
	v_mul_u32_u24_e32 v29, 0x48, v82
	v_fma_f16 v6, v6, -0.5, v26
	v_sub_f16_e32 v23, v38, v50
	v_add3_u32 v53, 0, v29, v83
	v_perm_b32 v29, v85, v84, s7
	v_fma_f16 v26, v23, s8, v6
	v_fma_f16 v73, v23, s9, v6
	v_add_f16_e32 v6, v37, v24
	v_pk_mul_lo_u16 v29, v29, s6 op_sel_hi:[1,0]
	v_lshlrev_b32_e32 v55, 1, v86
	v_fma_f16 v23, v6, -0.5, v19
	v_sub_f16_e32 v25, v36, v35
	v_and_b32_e32 v32, 0xfff8, v29
	v_lshrrev_b32_e32 v29, 16, v29
	v_fma_f16 v6, v25, s9, v23
	v_add3_u32 v65, 0, v32, v91
	v_add3_u32 v66, 0, v29, v55
	v_mul_lo_u16_e32 v55, 36, v87
	v_lshlrev_b32_e32 v64, 1, v88
	ds_write_b16 v53, v67
	ds_write_b16 v53, v68 offset:24
	ds_write_b16 v53, v69 offset:48
	ds_write_b16 v65, v70
	ds_write_b16 v65, v30 offset:24
	ds_write_b16 v65, v71 offset:48
	;; [unrolled: 3-line block ×3, first 2 shown]
	s_and_saveexec_b64 s[6:7], s[0:1]
	s_cbranch_execz .LBB0_27
; %bb.26:
	v_mul_f16_e32 v25, 0x3aee, v25
	v_sub_f16_e32 v23, v23, v25
	v_add_f16_e32 v19, v19, v37
	v_lshlrev_b32_e32 v25, 1, v55
	v_add_f16_e32 v19, v19, v24
	v_add3_u32 v25, 0, v64, v25
	ds_write_b16 v25, v19
	ds_write_b16 v25, v23 offset:24
	ds_write_b16 v25, v6 offset:48
.LBB0_27:
	s_or_b64 exec, exec, s[6:7]
	v_add_f16_e32 v19, v31, v63
	v_add_f16_e32 v67, v19, v60
	v_add_f16_e32 v19, v63, v60
	v_fma_f16 v19, v19, -0.5, v31
	v_sub_f16_e32 v23, v61, v62
	v_fma_f16 v60, v23, s9, v19
	v_fma_f16 v61, v23, s8, v19
	v_add_f16_e32 v19, v33, v58
	v_add_f16_e32 v62, v19, v59
	v_add_f16_e32 v19, v58, v59
	v_fma_f16 v19, v19, -0.5, v33
	v_sub_f16_e32 v23, v48, v56
	v_fma_f16 v48, v23, s9, v19
	v_fma_f16 v56, v23, s8, v19
	;; [unrolled: 7-line block ×5, first 2 shown]
	v_add_f16_e32 v7, v21, v38
	v_add_f16_e32 v57, v7, v50
	;; [unrolled: 1-line block ×3, first 2 shown]
	v_fma_f16 v7, v7, -0.5, v21
	v_sub_f16_e32 v15, v15, v40
	v_add_u32_e32 v19, v14, v13
	v_fma_f16 v50, v15, s9, v7
	v_fma_f16 v59, v15, s8, v7
	v_sub_f16_e32 v40, v37, v24
	s_waitcnt lgkmcnt(0)
	; wave barrier
	s_waitcnt lgkmcnt(0)
	ds_read_u16 v33, v19
	ds_read_u16 v13, v8
	;; [unrolled: 1-line block ×3, first 2 shown]
	ds_read_u16 v32, v0 offset:630
	ds_read_u16 v29, v0 offset:756
	;; [unrolled: 1-line block ×7, first 2 shown]
	ds_read_u16 v38, v17
	ds_read_u16 v18, v16
	ds_read_u16 v37, v0 offset:1512
	ds_read_u16 v25, v0 offset:1386
	;; [unrolled: 1-line block ×4, first 2 shown]
	ds_read_u16 v14, v9
	ds_read_u16 v24, v0 offset:2394
	ds_read_u16 v39, v0 offset:2016
	;; [unrolled: 1-line block ×3, first 2 shown]
	v_add_f16_e32 v7, v36, v35
	v_fma_f16 v22, v7, -0.5, v20
	v_fma_f16 v7, v40, s8, v22
	s_waitcnt lgkmcnt(0)
	; wave barrier
	s_waitcnt lgkmcnt(0)
	ds_write_b16 v49, v67
	ds_write_b16 v49, v60 offset:24
	ds_write_b16 v49, v61 offset:48
	ds_write_b16 v51, v62
	ds_write_b16 v51, v48 offset:24
	ds_write_b16 v51, v56 offset:48
	;; [unrolled: 3-line block ×6, first 2 shown]
	s_and_saveexec_b64 s[6:7], s[0:1]
	s_cbranch_execz .LBB0_29
; %bb.28:
	v_add_f16_e32 v20, v20, v36
	v_add_f16_e32 v20, v20, v35
	v_lshlrev_b32_e32 v35, 1, v55
	v_mul_f16_e32 v40, 0x3aee, v40
	v_add3_u32 v35, 0, v64, v35
	v_add_f16_e32 v22, v40, v22
	ds_write_b16 v35, v20
	ds_write_b16 v35, v22 offset:24
	ds_write_b16 v35, v7 offset:48
.LBB0_29:
	s_or_b64 exec, exec, s[6:7]
	v_subrev_u32_e32 v20, 36, v10
	v_cmp_gt_u32_e64 s[0:1], 36, v10
	v_mov_b32_e32 v41, 0
	v_mov_b32_e32 v22, 4
	v_cndmask_b32_e64 v35, v20, v10, s[0:1]
	v_mov_b32_e32 v20, 57
	v_mul_lo_u16_sdwa v36, v1, v20 dst_sel:DWORD dst_unused:UNUSED_PAD src0_sel:BYTE_0 src1_sel:DWORD
	v_lshrrev_b16_e32 v36, 11, v36
	v_mul_lo_u16_e32 v44, 36, v36
	v_lshlrev_b32_e32 v40, 2, v35
	v_sub_u16_e32 v78, v1, v44
	v_lshl_add_u64 v[40:41], v[40:41], 2, s[4:5]
	v_lshlrev_b32_sdwa v44, v22, v78 dst_sel:DWORD dst_unused:UNUSED_PAD src0_sel:DWORD src1_sel:BYTE_0
	s_waitcnt lgkmcnt(0)
	; wave barrier
	s_waitcnt lgkmcnt(0)
	global_load_dwordx4 v[40:43], v[40:41], off offset:136
	s_mov_b32 s9, 0xbb9c
	global_load_dwordx4 v[46:49], v44, s[4:5] offset:136
	v_mul_lo_u16_sdwa v44, v11, v20 dst_sel:DWORD dst_unused:UNUSED_PAD src0_sel:BYTE_0 src1_sel:DWORD
	v_lshrrev_b16_e32 v79, 11, v44
	v_mul_lo_u16_e32 v44, 36, v79
	v_sub_u16_e32 v80, v11, v44
	v_lshlrev_b32_sdwa v44, v22, v80 dst_sel:DWORD dst_unused:UNUSED_PAD src0_sel:DWORD src1_sel:BYTE_0
	v_mul_lo_u16_sdwa v20, v12, v20 dst_sel:DWORD dst_unused:UNUSED_PAD src0_sel:BYTE_0 src1_sel:DWORD
	global_load_dwordx4 v[70:73], v44, s[4:5] offset:136
	v_lshrrev_b16_e32 v81, 11, v20
	v_mul_lo_u16_e32 v20, 36, v81
	v_sub_u16_e32 v82, v12, v20
	v_lshlrev_b32_sdwa v12, v22, v82 dst_sel:DWORD dst_unused:UNUSED_PAD src0_sel:DWORD src1_sel:BYTE_0
	global_load_dwordx4 v[74:77], v12, s[4:5] offset:136
	ds_read_u16 v12, v19
	ds_read_u16 v19, v8
	;; [unrolled: 1-line block ×3, first 2 shown]
	ds_read_u16 v45, v0 offset:630
	ds_read_u16 v50, v0 offset:756
	;; [unrolled: 1-line block ×7, first 2 shown]
	ds_read_u16 v17, v17
	ds_read_u16 v22, v16
	ds_read_u16 v16, v0 offset:1512
	ds_read_u16 v83, v0 offset:1386
	;; [unrolled: 1-line block ×4, first 2 shown]
	ds_read_u16 v20, v9
	ds_read_u16 v85, v0 offset:2394
	ds_read_u16 v52, v0 offset:2016
	;; [unrolled: 1-line block ×3, first 2 shown]
	s_movk_i32 s13, 0x3b9c
	s_mov_b32 s8, 0xb8b4
	s_movk_i32 s14, 0x38b4
	s_movk_i32 s12, 0x34f2
	v_cmp_lt_u32_e64 s[0:1], 35, v10
	v_lshlrev_b32_e32 v35, 1, v35
	s_waitcnt lgkmcnt(0)
	; wave barrier
	s_waitcnt vmcnt(3) lgkmcnt(0)
	v_mul_f16_sdwa v57, v17, v40 dst_sel:DWORD dst_unused:UNUSED_PAD src0_sel:DWORD src1_sel:WORD_1
	v_mul_f16_sdwa v58, v38, v40 dst_sel:DWORD dst_unused:UNUSED_PAD src0_sel:DWORD src1_sel:WORD_1
	;; [unrolled: 1-line block ×8, first 2 shown]
	v_fma_f16 v65, v38, v40, v57
	v_fma_f16 v57, v17, v40, -v58
	v_fma_f16 v58, v12, v41, -v60
	s_waitcnt vmcnt(2)
	v_mul_f16_sdwa v12, v45, v46 dst_sel:DWORD dst_unused:UNUSED_PAD src0_sel:DWORD src1_sel:WORD_1
	v_fma_f16 v66, v33, v41, v59
	v_fma_f16 v67, v37, v42, v61
	v_fma_f16 v59, v16, v42, -v62
	v_fma_f16 v68, v39, v43, v63
	v_fma_f16 v60, v52, v43, -v64
	v_mul_f16_sdwa v39, v56, v49 dst_sel:DWORD dst_unused:UNUSED_PAD src0_sel:DWORD src1_sel:WORD_1
	v_mul_f16_sdwa v40, v31, v49 dst_sel:DWORD dst_unused:UNUSED_PAD src0_sel:DWORD src1_sel:WORD_1
	s_waitcnt vmcnt(1)
	v_mul_f16_sdwa v41, v50, v70 dst_sel:DWORD dst_unused:UNUSED_PAD src0_sel:DWORD src1_sel:WORD_1
	v_mul_f16_sdwa v42, v29, v70 dst_sel:DWORD dst_unused:UNUSED_PAD src0_sel:DWORD src1_sel:WORD_1
	;; [unrolled: 1-line block ×4, first 2 shown]
	v_fma_f16 v61, v32, v46, v12
	v_mul_f16_sdwa v12, v55, v72 dst_sel:DWORD dst_unused:UNUSED_PAD src0_sel:DWORD src1_sel:WORD_1
	v_mul_f16_sdwa v16, v32, v46 dst_sel:DWORD dst_unused:UNUSED_PAD src0_sel:DWORD src1_sel:WORD_1
	v_fma_f16 v64, v31, v49, v39
	v_fma_f16 v56, v56, v49, -v40
	v_fma_f16 v49, v29, v70, v41
	v_fma_f16 v41, v50, v70, -v42
	;; [unrolled: 2-line block ×3, first 2 shown]
	v_fma_f16 v51, v23, v72, v12
	v_mul_f16_sdwa v12, v23, v72 dst_sel:DWORD dst_unused:UNUSED_PAD src0_sel:DWORD src1_sel:WORD_1
	v_fma_f16 v52, v45, v46, -v16
	v_fma_f16 v45, v55, v72, -v12
	v_mul_f16_sdwa v12, v69, v73 dst_sel:DWORD dst_unused:UNUSED_PAD src0_sel:DWORD src1_sel:WORD_1
	v_mul_f16_sdwa v17, v53, v47 dst_sel:DWORD dst_unused:UNUSED_PAD src0_sel:DWORD src1_sel:WORD_1
	;; [unrolled: 1-line block ×3, first 2 shown]
	v_fma_f16 v55, v21, v73, v12
	v_mul_f16_sdwa v12, v21, v73 dst_sel:DWORD dst_unused:UNUSED_PAD src0_sel:DWORD src1_sel:WORD_1
	v_fma_f16 v62, v34, v47, v17
	v_fma_f16 v53, v53, v47, -v33
	v_fma_f16 v47, v69, v73, -v12
	s_waitcnt vmcnt(0)
	v_mul_f16_sdwa v12, v84, v74 dst_sel:DWORD dst_unused:UNUSED_PAD src0_sel:DWORD src1_sel:WORD_1
	v_fma_f16 v21, v27, v74, v12
	v_mul_f16_sdwa v12, v27, v74 dst_sel:DWORD dst_unused:UNUSED_PAD src0_sel:DWORD src1_sel:WORD_1
	v_fma_f16 v23, v84, v74, -v12
	v_mul_f16_sdwa v12, v83, v75 dst_sel:DWORD dst_unused:UNUSED_PAD src0_sel:DWORD src1_sel:WORD_1
	v_mul_f16_sdwa v38, v30, v48 dst_sel:DWORD dst_unused:UNUSED_PAD src0_sel:DWORD src1_sel:WORD_1
	v_fma_f16 v42, v25, v75, v12
	v_mul_f16_sdwa v12, v25, v75 dst_sel:DWORD dst_unused:UNUSED_PAD src0_sel:DWORD src1_sel:WORD_1
	v_mul_f16_sdwa v37, v54, v48 dst_sel:DWORD dst_unused:UNUSED_PAD src0_sel:DWORD src1_sel:WORD_1
	v_fma_f16 v54, v54, v48, -v38
	v_fma_f16 v38, v83, v75, -v12
	v_mul_f16_sdwa v12, v86, v76 dst_sel:DWORD dst_unused:UNUSED_PAD src0_sel:DWORD src1_sel:WORD_1
	v_fma_f16 v46, v26, v76, v12
	v_mul_f16_sdwa v12, v26, v76 dst_sel:DWORD dst_unused:UNUSED_PAD src0_sel:DWORD src1_sel:WORD_1
	v_fma_f16 v39, v86, v76, -v12
	v_mul_f16_sdwa v12, v85, v77 dst_sel:DWORD dst_unused:UNUSED_PAD src0_sel:DWORD src1_sel:WORD_1
	v_fma_f16 v63, v30, v48, v37
	v_fma_f16 v48, v24, v77, v12
	v_mul_f16_sdwa v12, v24, v77 dst_sel:DWORD dst_unused:UNUSED_PAD src0_sel:DWORD src1_sel:WORD_1
	v_fma_f16 v40, v85, v77, -v12
	v_add_f16_e32 v12, v15, v65
	v_add_f16_e32 v12, v12, v66
	;; [unrolled: 1-line block ×5, first 2 shown]
	v_fma_f16 v12, v12, -0.5, v15
	v_sub_f16_e32 v16, v57, v60
	v_fma_f16 v17, v16, s9, v12
	v_sub_f16_e32 v25, v58, v59
	v_sub_f16_e32 v26, v65, v66
	;; [unrolled: 1-line block ×3, first 2 shown]
	v_fma_f16 v12, v16, s13, v12
	v_fma_f16 v17, v25, s8, v17
	v_add_f16_e32 v26, v26, v27
	v_fma_f16 v12, v25, s14, v12
	v_fma_f16 v27, v26, s12, v17
	v_fma_f16 v26, v26, s12, v12
	v_add_f16_e32 v12, v65, v68
	v_fma_f16 v12, v12, -0.5, v15
	v_fma_f16 v15, v25, s13, v12
	v_sub_f16_e32 v17, v66, v65
	v_sub_f16_e32 v28, v67, v68
	v_fma_f16 v12, v25, s9, v12
	v_add_f16_e32 v17, v17, v28
	v_fma_f16 v12, v16, s14, v12
	v_fma_f16 v25, v17, s12, v12
	v_add_f16_e32 v12, v14, v61
	v_add_f16_e32 v12, v12, v62
	;; [unrolled: 1-line block ×3, first 2 shown]
	v_fma_f16 v15, v16, s8, v15
	v_add_f16_e32 v29, v12, v64
	v_add_f16_e32 v12, v62, v63
	v_fma_f16 v28, v17, s12, v15
	v_fma_f16 v12, v12, -0.5, v14
	v_sub_f16_e32 v15, v52, v56
	v_fma_f16 v16, v15, s9, v12
	v_sub_f16_e32 v17, v53, v54
	v_sub_f16_e32 v30, v61, v62
	;; [unrolled: 1-line block ×3, first 2 shown]
	v_fma_f16 v12, v15, s13, v12
	v_fma_f16 v16, v17, s8, v16
	v_add_f16_e32 v30, v30, v31
	v_fma_f16 v12, v17, s14, v12
	v_fma_f16 v31, v30, s12, v16
	;; [unrolled: 1-line block ×3, first 2 shown]
	v_add_f16_e32 v12, v61, v64
	v_fma_f16 v12, v12, -0.5, v14
	v_fma_f16 v14, v17, s13, v12
	v_sub_f16_e32 v16, v62, v61
	v_sub_f16_e32 v32, v63, v64
	v_fma_f16 v12, v17, s9, v12
	v_add_f16_e32 v16, v16, v32
	v_fma_f16 v12, v15, s14, v12
	v_fma_f16 v33, v16, s12, v12
	v_add_f16_e32 v12, v13, v49
	v_add_f16_e32 v12, v12, v50
	;; [unrolled: 1-line block ×3, first 2 shown]
	v_fma_f16 v14, v15, s8, v14
	v_add_f16_e32 v34, v12, v55
	v_add_f16_e32 v12, v50, v51
	v_fma_f16 v32, v16, s12, v14
	v_fma_f16 v12, v12, -0.5, v13
	v_sub_f16_e32 v14, v41, v47
	v_fma_f16 v15, v14, s9, v12
	v_sub_f16_e32 v16, v43, v45
	v_sub_f16_e32 v17, v49, v50
	;; [unrolled: 1-line block ×3, first 2 shown]
	v_fma_f16 v15, v16, s8, v15
	v_add_f16_e32 v17, v17, v37
	v_fma_f16 v37, v17, s12, v15
	v_fma_f16 v12, v14, s13, v12
	v_add_f16_e32 v15, v49, v55
	v_fma_f16 v12, v16, s14, v12
	v_fma_f16 v13, v15, -0.5, v13
	v_fma_f16 v12, v17, s12, v12
	v_fma_f16 v15, v16, s13, v13
	v_sub_f16_e32 v17, v50, v49
	v_sub_f16_e32 v69, v51, v55
	v_fma_f16 v13, v16, s9, v13
	v_fma_f16 v15, v14, s8, v15
	v_add_f16_e32 v17, v17, v69
	v_fma_f16 v13, v14, s14, v13
	v_add_f16_e32 v14, v42, v46
	v_fma_f16 v72, v17, s12, v15
	v_fma_f16 v73, v17, s12, v13
	v_fma_f16 v15, v14, -0.5, v18
	v_sub_f16_e32 v17, v23, v40
	v_fma_f16 v14, v17, s9, v15
	v_sub_f16_e32 v69, v38, v39
	v_sub_f16_e32 v16, v21, v42
	;; [unrolled: 1-line block ×3, first 2 shown]
	v_fma_f16 v15, v17, s13, v15
	v_fma_f16 v14, v69, s8, v14
	v_add_f16_e32 v16, v16, v70
	v_fma_f16 v15, v69, s14, v15
	v_fma_f16 v14, v16, s12, v14
	v_fma_f16 v15, v16, s12, v15
	v_add_f16_e32 v16, v21, v48
	v_add_f16_e32 v13, v18, v21
	v_fma_f16 v18, v16, -0.5, v18
	v_fma_f16 v16, v69, s13, v18
	v_fma_f16 v18, v69, s9, v18
	;; [unrolled: 1-line block ×4, first 2 shown]
	v_mov_b32_e32 v18, 0x168
	v_cndmask_b32_e64 v18, 0, v18, s[0:1]
	v_add3_u32 v69, 0, v18, v35
	v_sub_f16_e32 v70, v42, v21
	v_sub_f16_e32 v71, v46, v48
	ds_write_b16 v69, v24
	ds_write_b16 v69, v27 offset:72
	ds_write_b16 v69, v28 offset:144
	;; [unrolled: 1-line block ×4, first 2 shown]
	v_mov_b32_e32 v24, 1
	v_add_f16_e32 v70, v70, v71
	v_mul_u32_u24_e32 v18, 0x168, v36
	v_lshlrev_b32_sdwa v25, v24, v78 dst_sel:DWORD dst_unused:UNUSED_PAD src0_sel:DWORD src1_sel:BYTE_0
	v_add_f16_e32 v13, v13, v42
	v_fma_f16 v16, v70, s12, v16
	v_fma_f16 v17, v70, s12, v17
	v_add3_u32 v70, 0, v18, v25
	v_mul_u32_u24_e32 v18, 0x168, v79
	v_lshlrev_b32_sdwa v25, v24, v80 dst_sel:DWORD dst_unused:UNUSED_PAD src0_sel:DWORD src1_sel:BYTE_0
	v_add_f16_e32 v13, v13, v46
	v_add3_u32 v71, 0, v18, v25
	v_mul_u32_u24_e32 v18, 0x168, v81
	v_lshlrev_b32_sdwa v24, v24, v82 dst_sel:DWORD dst_unused:UNUSED_PAD src0_sel:DWORD src1_sel:BYTE_0
	v_add_f16_e32 v13, v13, v48
	ds_write_b16 v70, v29
	ds_write_b16 v70, v31 offset:72
	ds_write_b16 v70, v32 offset:144
	;; [unrolled: 1-line block ×4, first 2 shown]
	ds_write_b16 v71, v34
	ds_write_b16 v71, v37 offset:72
	ds_write_b16 v71, v72 offset:144
	;; [unrolled: 1-line block ×4, first 2 shown]
	v_add3_u32 v72, 0, v18, v24
	ds_write_b16 v72, v13
	ds_write_b16 v72, v14 offset:72
	ds_write_b16 v72, v16 offset:144
	;; [unrolled: 1-line block ×4, first 2 shown]
	s_waitcnt lgkmcnt(0)
	; wave barrier
	s_waitcnt lgkmcnt(0)
	ds_read_u16 v24, v0
	ds_read_u16 v26, v0 offset:360
	ds_read_u16 v25, v0 offset:1440
	;; [unrolled: 1-line block ×7, first 2 shown]
	ds_read_u16 v31, v9
	ds_read_u16 v36, v0 offset:2286
	ds_read_u16 v30, v0 offset:2160
	;; [unrolled: 1-line block ×5, first 2 shown]
	v_cmp_gt_u32_e64 s[0:1], 54, v10
	s_and_saveexec_b64 s[6:7], s[0:1]
	s_cbranch_execz .LBB0_31
; %bb.30:
	ds_read_u16 v13, v0 offset:612
	ds_read_u16 v14, v0 offset:972
	;; [unrolled: 1-line block ×5, first 2 shown]
	ds_read_u16 v12, v8
	ds_read_u16 v6, v0 offset:2412
.LBB0_31:
	s_or_b64 exec, exec, s[6:7]
	v_add_f16_e32 v18, v44, v57
	v_add_f16_e32 v18, v18, v58
	;; [unrolled: 1-line block ×5, first 2 shown]
	v_fma_f16 v18, v18, -0.5, v44
	v_sub_f16_e32 v65, v65, v68
	v_fma_f16 v68, v65, s13, v18
	v_sub_f16_e32 v66, v66, v67
	v_fma_f16 v67, v66, s14, v68
	v_sub_f16_e32 v68, v57, v58
	v_sub_f16_e32 v74, v60, v59
	v_fma_f16 v18, v65, s9, v18
	v_add_f16_e32 v68, v68, v74
	v_fma_f16 v18, v66, s8, v18
	v_fma_f16 v67, v68, s12, v67
	;; [unrolled: 1-line block ×3, first 2 shown]
	v_add_f16_e32 v18, v57, v60
	v_fma_f16 v18, v18, -0.5, v44
	v_fma_f16 v44, v66, s9, v18
	v_sub_f16_e32 v57, v58, v57
	v_sub_f16_e32 v58, v59, v60
	v_fma_f16 v18, v66, s13, v18
	v_fma_f16 v44, v65, s14, v44
	v_add_f16_e32 v57, v57, v58
	v_fma_f16 v18, v65, s8, v18
	v_fma_f16 v44, v57, s12, v44
	;; [unrolled: 1-line block ×3, first 2 shown]
	v_add_f16_e32 v18, v20, v52
	v_add_f16_e32 v18, v18, v53
	;; [unrolled: 1-line block ×5, first 2 shown]
	v_fma_f16 v18, v18, -0.5, v20
	v_sub_f16_e32 v59, v61, v64
	v_fma_f16 v60, v59, s13, v18
	v_sub_f16_e32 v61, v62, v63
	v_sub_f16_e32 v62, v52, v53
	;; [unrolled: 1-line block ×3, first 2 shown]
	v_fma_f16 v18, v59, s9, v18
	v_fma_f16 v60, v61, s14, v60
	v_add_f16_e32 v62, v62, v63
	v_fma_f16 v18, v61, s8, v18
	v_fma_f16 v60, v62, s12, v60
	;; [unrolled: 1-line block ×3, first 2 shown]
	v_add_f16_e32 v18, v52, v56
	v_fma_f16 v18, v18, -0.5, v20
	v_fma_f16 v20, v61, s9, v18
	v_sub_f16_e32 v52, v53, v52
	v_sub_f16_e32 v53, v54, v56
	v_fma_f16 v18, v61, s13, v18
	v_fma_f16 v20, v59, s14, v20
	v_add_f16_e32 v52, v52, v53
	v_fma_f16 v18, v59, s8, v18
	v_fma_f16 v53, v52, s12, v20
	;; [unrolled: 1-line block ×3, first 2 shown]
	v_add_f16_e32 v18, v19, v41
	v_add_f16_e32 v18, v18, v43
	;; [unrolled: 1-line block ×5, first 2 shown]
	v_fma_f16 v18, v18, -0.5, v19
	v_sub_f16_e32 v20, v49, v55
	v_fma_f16 v49, v20, s13, v18
	v_sub_f16_e32 v50, v50, v51
	v_sub_f16_e32 v51, v41, v43
	;; [unrolled: 1-line block ×3, first 2 shown]
	v_fma_f16 v18, v20, s9, v18
	v_fma_f16 v49, v50, s14, v49
	v_add_f16_e32 v51, v51, v55
	v_fma_f16 v18, v50, s8, v18
	v_fma_f16 v49, v51, s12, v49
	;; [unrolled: 1-line block ×3, first 2 shown]
	v_add_f16_e32 v51, v41, v47
	v_fma_f16 v19, v51, -0.5, v19
	v_fma_f16 v51, v50, s9, v19
	v_fma_f16 v19, v50, s13, v19
	;; [unrolled: 1-line block ×4, first 2 shown]
	v_add_f16_e32 v20, v38, v39
	v_sub_f16_e32 v41, v43, v41
	v_sub_f16_e32 v43, v45, v47
	v_fma_f16 v45, v20, -0.5, v22
	v_sub_f16_e32 v47, v21, v48
	v_fma_f16 v20, v47, s13, v45
	v_sub_f16_e32 v42, v42, v46
	v_sub_f16_e32 v21, v23, v38
	;; [unrolled: 1-line block ×3, first 2 shown]
	v_fma_f16 v45, v47, s9, v45
	v_add_f16_e32 v41, v41, v43
	v_fma_f16 v20, v42, s14, v20
	v_add_f16_e32 v21, v21, v46
	v_fma_f16 v45, v42, s8, v45
	v_fma_f16 v43, v41, s12, v51
	;; [unrolled: 1-line block ×3, first 2 shown]
	v_add_f16_e32 v19, v22, v23
	v_fma_f16 v20, v21, s12, v20
	v_fma_f16 v21, v21, s12, v45
	v_add_f16_e32 v45, v23, v40
	v_add_f16_e32 v19, v19, v38
	v_fma_f16 v45, v45, -0.5, v22
	v_sub_f16_e32 v23, v38, v23
	v_sub_f16_e32 v38, v39, v40
	v_fma_f16 v22, v42, s9, v45
	v_add_f16_e32 v23, v23, v38
	v_fma_f16 v38, v42, s13, v45
	v_add_f16_e32 v19, v19, v39
	v_fma_f16 v22, v47, s14, v22
	v_fma_f16 v38, v47, s8, v38
	v_add_f16_e32 v19, v19, v40
	v_fma_f16 v22, v23, s12, v22
	v_fma_f16 v23, v23, s12, v38
	s_waitcnt lgkmcnt(0)
	; wave barrier
	s_waitcnt lgkmcnt(0)
	ds_write_b16 v69, v73
	ds_write_b16 v69, v67 offset:72
	ds_write_b16 v69, v44 offset:144
	ds_write_b16 v69, v57 offset:216
	ds_write_b16 v69, v68 offset:288
	ds_write_b16 v70, v58
	ds_write_b16 v70, v60 offset:72
	ds_write_b16 v70, v53 offset:144
	ds_write_b16 v70, v52 offset:216
	ds_write_b16 v70, v62 offset:288
	;; [unrolled: 5-line block ×4, first 2 shown]
	s_waitcnt lgkmcnt(0)
	; wave barrier
	s_waitcnt lgkmcnt(0)
	ds_read_u16 v38, v0
	ds_read_u16 v40, v0 offset:360
	ds_read_u16 v39, v0 offset:1440
	;; [unrolled: 1-line block ×7, first 2 shown]
	ds_read_u16 v44, v9
	ds_read_u16 v49, v0 offset:2286
	ds_read_u16 v43, v0 offset:2160
	;; [unrolled: 1-line block ×5, first 2 shown]
	s_and_saveexec_b64 s[6:7], s[0:1]
	s_cbranch_execz .LBB0_33
; %bb.32:
	ds_read_u16 v19, v0 offset:612
	ds_read_u16 v20, v0 offset:972
	;; [unrolled: 1-line block ×5, first 2 shown]
	ds_read_u16 v18, v8
	ds_read_u16 v7, v0 offset:2412
.LBB0_33:
	s_or_b64 exec, exec, s[6:7]
	s_and_saveexec_b64 s[6:7], vcc
	s_cbranch_execz .LBB0_36
; %bb.34:
	v_mul_i32_i24_e32 v0, 6, v1
	v_mov_b32_e32 v1, 0
	v_lshl_add_u64 v[56:57], v[0:1], 2, s[4:5]
	global_load_dwordx4 v[52:55], v[56:57], off offset:712
	global_load_dwordx2 v[60:61], v[56:57], off offset:728
	v_mul_lo_u32 v0, s3, v4
	v_mul_lo_u32 v8, s2, v5
	v_mad_u64_u32 v[4:5], s[2:3], s2, v4, 0
	v_mul_u32_u24_e32 v51, 6, v10
	v_add3_u32 v5, v5, v8, v0
	v_lshlrev_b32_e32 v0, 2, v51
	global_load_dwordx4 v[56:59], v0, s[4:5] offset:712
	global_load_dwordx2 v[62:63], v0, s[4:5] offset:728
	s_mov_b32 s3, 0xb574
	s_movk_i32 s9, 0x3574
	s_mov_b32 s6, 0xbcab
	s_mov_b32 s8, 0xbb00
	;; [unrolled: 1-line block ×3, first 2 shown]
	s_movk_i32 s13, 0x39e0
	s_mov_b32 s2, 0xb70e
	s_movk_i32 s14, 0x3a52
	s_mov_b32 s18, 0x16c16c17
	s_movk_i32 s19, 0xb4
	v_lshl_add_u64 v[4:5], v[4:5], 2, s[10:11]
	v_lshl_add_u64 v[2:3], v[2:3], 2, v[4:5]
	s_movk_i32 s7, 0x2b26
	s_waitcnt vmcnt(3) lgkmcnt(6)
	v_mul_f16_sdwa v0, v47, v52 dst_sel:DWORD dst_unused:UNUSED_PAD src0_sel:DWORD src1_sel:WORD_1
	s_waitcnt lgkmcnt(0)
	v_mul_f16_sdwa v51, v50, v55 dst_sel:DWORD dst_unused:UNUSED_PAD src0_sel:DWORD src1_sel:WORD_1
	v_mul_f16_sdwa v64, v46, v54 dst_sel:DWORD dst_unused:UNUSED_PAD src0_sel:DWORD src1_sel:WORD_1
	v_mul_f16_sdwa v65, v45, v53 dst_sel:DWORD dst_unused:UNUSED_PAD src0_sel:DWORD src1_sel:WORD_1
	s_waitcnt vmcnt(2)
	v_mul_f16_sdwa v66, v48, v60 dst_sel:DWORD dst_unused:UNUSED_PAD src0_sel:DWORD src1_sel:WORD_1
	v_mul_f16_sdwa v8, v49, v61 dst_sel:DWORD dst_unused:UNUSED_PAD src0_sel:DWORD src1_sel:WORD_1
	;; [unrolled: 1-line block ×8, first 2 shown]
	v_fma_f16 v0, v34, v52, v0
	v_fma_f16 v34, v37, v55, v51
	;; [unrolled: 1-line block ×6, first 2 shown]
	v_fma_f16 v36, v49, v61, -v67
	v_fma_f16 v37, v47, v52, -v68
	;; [unrolled: 1-line block ×5, first 2 shown]
	v_sub_f16_e32 v50, v34, v32
	v_sub_f16_e32 v51, v33, v35
	v_fma_f16 v46, v46, v54, -v69
	v_sub_f16_e32 v49, v0, v8
	v_add_f16_e32 v52, v37, v36
	v_add_f16_e32 v54, v45, v48
	;; [unrolled: 1-line block ×5, first 2 shown]
	v_sub_f16_e32 v35, v45, v48
	v_add_f16_e32 v45, v50, v51
	v_add_f16_e32 v53, v47, v46
	v_sub_f16_e32 v33, v37, v36
	v_sub_f16_e32 v34, v47, v46
	;; [unrolled: 1-line block ×4, first 2 shown]
	v_add_f16_e32 v48, v52, v54
	v_add_f16_e32 v60, v0, v32
	;; [unrolled: 1-line block ×3, first 2 shown]
	v_sub_f16_e32 v49, v51, v49
	v_sub_f16_e32 v46, v52, v53
	;; [unrolled: 1-line block ×6, first 2 shown]
	v_add_f16_e32 v34, v34, v35
	v_mul_f16_e32 v37, 0x3846, v37
	v_add_f16_e32 v48, v53, v48
	v_add_f16_e32 v8, v8, v60
	v_mul_f16_e32 v51, 0xbb00, v49
	v_sub_f16_e32 v47, v53, v54
	v_mul_f16_e32 v65, 0x3a52, v46
	v_mul_f16_e32 v53, 0x3a52, v50
	;; [unrolled: 1-line block ×4, first 2 shown]
	v_add_f16_e32 v34, v33, v34
	v_fma_f16 v64, v36, s3, v37
	v_add_f16_e32 v44, v44, v48
	v_add_f16_e32 v31, v31, v8
	v_fma_f16 v36, v36, s9, -v51
	v_sub_f16_e32 v51, v54, v52
	v_sub_f16_e32 v0, v32, v0
	;; [unrolled: 1-line block ×3, first 2 shown]
	v_fma_f16 v48, v48, s6, v44
	v_fma_f16 v8, v8, s6, v31
	v_fma_f16 v52, v51, s12, -v65
	v_fma_f16 v32, v0, s12, -v53
	v_mul_f16_e32 v35, 0xbb00, v33
	v_fma_f16 v33, v33, s8, -v60
	v_fma_f16 v0, v0, s13, -v55
	v_mul_f16_e32 v47, 0x2b26, v47
	v_fma_f16 v50, v50, s14, v55
	v_fma_f16 v66, v61, s3, v60
	;; [unrolled: 1-line block ×3, first 2 shown]
	v_add_f16_e32 v52, v52, v48
	v_fma_f16 v35, v61, s9, -v35
	v_fma_f16 v33, v34, s2, v33
	v_add_f16_e32 v0, v0, v8
	v_fma_f16 v46, v46, s14, v47
	v_fma_f16 v66, v34, s2, v66
	v_add_f16_e32 v50, v50, v8
	v_add_f16_e32 v54, v36, v52
	;; [unrolled: 1-line block ×3, first 2 shown]
	v_fma_f16 v35, v34, s2, v35
	v_fma_f16 v47, v51, s13, -v47
	v_add_f16_e32 v34, v33, v0
	v_sub_f16_e32 v33, v0, v33
	v_sub_f16_e32 v36, v52, v36
	s_waitcnt vmcnt(1)
	v_mul_f16_sdwa v0, v40, v56 dst_sel:DWORD dst_unused:UNUSED_PAD src0_sel:DWORD src1_sel:WORD_1
	s_waitcnt vmcnt(0)
	v_mul_f16_sdwa v8, v43, v63 dst_sel:DWORD dst_unused:UNUSED_PAD src0_sel:DWORD src1_sel:WORD_1
	v_mul_f16_sdwa v52, v41, v57 dst_sel:DWORD dst_unused:UNUSED_PAD src0_sel:DWORD src1_sel:WORD_1
	;; [unrolled: 1-line block ×3, first 2 shown]
	v_add_f16_e32 v46, v46, v48
	v_add_f16_e32 v47, v47, v48
	v_fma_f16 v37, v49, s8, -v37
	v_fma_f16 v0, v26, v56, v0
	v_fma_f16 v8, v30, v63, v8
	v_mul_f16_sdwa v48, v39, v59 dst_sel:DWORD dst_unused:UNUSED_PAD src0_sel:DWORD src1_sel:WORD_1
	v_mul_f16_sdwa v49, v42, v58 dst_sel:DWORD dst_unused:UNUSED_PAD src0_sel:DWORD src1_sel:WORD_1
	v_fma_f16 v52, v27, v57, v52
	v_fma_f16 v55, v29, v62, v55
	v_mul_f16_sdwa v30, v30, v63 dst_sel:DWORD dst_unused:UNUSED_PAD src0_sel:DWORD src1_sel:WORD_1
	v_mul_f16_sdwa v26, v26, v56 dst_sel:DWORD dst_unused:UNUSED_PAD src0_sel:DWORD src1_sel:WORD_1
	;; [unrolled: 1-line block ×4, first 2 shown]
	v_fma_f16 v48, v25, v59, v48
	v_fma_f16 v49, v28, v58, v49
	v_fma_f16 v30, v43, v63, -v30
	v_fma_f16 v26, v40, v56, -v26
	v_mul_f16_sdwa v28, v28, v58 dst_sel:DWORD dst_unused:UNUSED_PAD src0_sel:DWORD src1_sel:WORD_1
	v_mul_f16_sdwa v25, v25, v59 dst_sel:DWORD dst_unused:UNUSED_PAD src0_sel:DWORD src1_sel:WORD_1
	v_fma_f16 v9, v9, v62, -v29
	v_fma_f16 v27, v41, v57, -v27
	v_fma_f16 v37, v45, s2, v37
	v_add_f16_e32 v40, v26, v30
	v_fma_f16 v28, v42, v58, -v28
	v_fma_f16 v25, v39, v59, -v25
	v_add_f16_e32 v29, v27, v9
	v_fma_f16 v64, v45, s2, v64
	v_sub_f16_e32 v45, v47, v37
	v_add_f16_e32 v37, v37, v47
	v_sub_f16_e32 v47, v0, v8
	v_sub_f16_e32 v60, v52, v55
	v_add_f16_e32 v39, v25, v28
	v_add_f16_e32 v56, v40, v29
	;; [unrolled: 1-line block ×5, first 2 shown]
	v_sub_f16_e32 v68, v50, v66
	v_sub_f16_e32 v53, v32, v35
	v_add_f16_e32 v32, v35, v32
	v_sub_f16_e32 v35, v46, v64
	v_add_f16_e32 v46, v66, v50
	v_sub_f16_e32 v50, v48, v49
	v_sub_f16_e32 v42, v40, v39
	v_sub_f16_e32 v41, v39, v29
	v_add_f16_e32 v39, v39, v56
	v_add_f16_e32 v8, v48, v49
	;; [unrolled: 1-line block ×3, first 2 shown]
	v_sub_f16_e32 v25, v25, v28
	v_sub_f16_e32 v9, v27, v9
	;; [unrolled: 1-line block ×4, first 2 shown]
	v_add_f16_e32 v50, v50, v60
	v_mul_f16_e32 v43, 0x3a52, v42
	v_mul_f16_e32 v41, 0x2b26, v41
	v_add_f16_e32 v38, v38, v39
	v_sub_f16_e32 v48, v0, v8
	v_sub_f16_e32 v55, v8, v52
	v_add_f16_e32 v8, v8, v57
	v_sub_f16_e32 v26, v26, v30
	v_sub_f16_e32 v27, v25, v9
	;; [unrolled: 1-line block ×3, first 2 shown]
	v_mul_f16_e32 v61, 0x3846, v61
	v_add_f16_e32 v50, v47, v50
	v_fma_f16 v42, v42, s14, v41
	v_fma_f16 v39, v39, s6, v38
	v_mul_f16_e32 v49, 0x3a52, v48
	v_mul_f16_e32 v55, 0x2b26, v55
	v_add_f16_e32 v57, v24, v8
	v_sub_f16_e32 v28, v26, v25
	v_mul_f16_e32 v27, 0x3846, v27
	v_add_f16_e32 v25, v25, v9
	v_sub_f16_e32 v47, v60, v47
	v_fma_f16 v40, v29, s12, -v43
	v_sub_f16_e32 v0, v52, v0
	v_sub_f16_e32 v9, v9, v26
	v_fma_f16 v29, v29, s13, -v41
	v_add_f16_e32 v42, v42, v39
	v_fma_f16 v8, v8, s6, v57
	v_add_f16_e32 v25, v26, v25
	v_add_f16_e32 v40, v40, v39
	v_fma_f16 v49, v0, s12, -v49
	v_mul_f16_e32 v26, 0xbb00, v9
	v_add_f16_e32 v29, v29, v39
	v_fma_f16 v39, v47, s8, -v61
	v_fma_f16 v9, v9, s8, -v27
	v_fma_f16 v0, v0, s13, -v55
	v_fma_f16 v39, v50, s2, v39
	v_fma_f16 v9, v25, s2, v9
	v_add_f16_e32 v0, v0, v8
	v_fma_f16 v30, v28, s3, v27
	v_sub_f16_e32 v41, v29, v39
	v_add_f16_e32 v27, v9, v0
	v_add_f16_e32 v29, v39, v29
	v_sub_f16_e32 v39, v0, v9
	v_lshrrev_b32_e32 v0, 2, v10
	v_mul_hi_u32 v0, v0, s18
	v_lshrrev_b32_e32 v0, 2, v0
	v_mul_lo_u32 v0, v0, s19
	v_fma_f16 v48, v48, s14, v55
	v_mul_f16_e32 v58, 0xbb00, v47
	v_sub_u32_e32 v47, v10, v0
	v_add_f16_e32 v24, v48, v8
	v_add_f16_e32 v49, v49, v8
	v_mad_u64_u32 v[8:9], s[14:15], s16, v47, 0
	v_fma_f16 v30, v25, s2, v30
	v_fma_f16 v26, v28, s9, -v26
	v_mov_b32_e32 v0, v9
	v_sub_f16_e32 v48, v24, v30
	v_fma_f16 v26, v25, s2, v26
	v_add_f16_e32 v30, v30, v24
	v_mad_u64_u32 v[24:25], s[14:15], s17, v47, v[0:1]
	v_mov_b32_e32 v9, v24
	v_lshl_add_u64 v[4:5], v[8:9], 2, v[2:3]
	v_pack_b32_f16 v0, v57, v38
	v_add_u32_e32 v8, 0xb4, v47
	global_store_dword v[4:5], v0, off
	v_mad_u64_u32 v[4:5], s[10:11], s16, v8, 0
	v_fma_f16 v64, v51, s3, v61
	v_mov_b32_e32 v0, v5
	v_fma_f16 v64, v50, s2, v64
	v_mad_u64_u32 v[8:9], s[10:11], s17, v8, v[0:1]
	v_add_f16_e32 v56, v64, v42
	v_sub_f16_e32 v42, v42, v64
	v_mov_b32_e32 v5, v8
	v_lshl_add_u64 v[4:5], v[4:5], 2, v[2:3]
	v_pack_b32_f16 v0, v30, v42
	v_add_u32_e32 v8, 0x168, v47
	global_store_dword v[4:5], v0, off
	v_mad_u64_u32 v[4:5], s[10:11], s16, v8, 0
	v_fma_f16 v51, v51, s9, -v58
	v_mov_b32_e32 v0, v5
	v_fma_f16 v51, v50, s2, v51
	v_mad_u64_u32 v[8:9], s[10:11], s17, v8, v[0:1]
	v_add_f16_e32 v43, v51, v40
	v_sub_f16_e32 v28, v49, v26
	v_sub_f16_e32 v40, v40, v51
	v_add_f16_e32 v26, v26, v49
	v_mov_b32_e32 v5, v8
	v_lshl_add_u64 v[4:5], v[4:5], 2, v[2:3]
	v_pack_b32_f16 v0, v26, v40
	v_add_u32_e32 v8, 0x21c, v47
	global_store_dword v[4:5], v0, off
	v_mad_u64_u32 v[4:5], s[10:11], s16, v8, 0
	v_mov_b32_e32 v0, v5
	v_mad_u64_u32 v[8:9], s[10:11], s17, v8, v[0:1]
	v_mov_b32_e32 v5, v8
	v_lshl_add_u64 v[4:5], v[4:5], 2, v[2:3]
	v_pack_b32_f16 v0, v39, v29
	v_add_u32_e32 v8, 0x2d0, v47
	global_store_dword v[4:5], v0, off
	v_mad_u64_u32 v[4:5], s[10:11], s16, v8, 0
	v_mov_b32_e32 v0, v5
	v_mad_u64_u32 v[8:9], s[10:11], s17, v8, v[0:1]
	v_mov_b32_e32 v5, v8
	v_lshl_add_u64 v[4:5], v[4:5], 2, v[2:3]
	v_pack_b32_f16 v0, v27, v41
	v_add_u32_e32 v8, 0x384, v47
	global_store_dword v[4:5], v0, off
	v_mad_u64_u32 v[4:5], s[10:11], s16, v8, 0
	v_mov_b32_e32 v0, v5
	v_mad_u64_u32 v[8:9], s[10:11], s17, v8, v[0:1]
	v_mov_b32_e32 v5, v8
	v_lshl_add_u64 v[4:5], v[4:5], 2, v[2:3]
	v_pack_b32_f16 v0, v28, v43
	v_add_u32_e32 v8, 0x438, v47
	global_store_dword v[4:5], v0, off
	v_mad_u64_u32 v[4:5], s[10:11], s16, v8, 0
	v_mov_b32_e32 v0, v5
	v_mad_u64_u32 v[8:9], s[10:11], s17, v8, v[0:1]
	v_mov_b32_e32 v5, v8
	v_lshl_add_u64 v[4:5], v[4:5], 2, v[2:3]
	v_pack_b32_f16 v0, v48, v56
	global_store_dword v[4:5], v0, off
	v_add_u32_e32 v0, 63, v10
	v_lshrrev_b32_e32 v4, 2, v0
	v_mul_hi_u32 v4, v4, s18
	v_lshrrev_b32_e32 v4, 2, v4
	v_mul_lo_u32 v5, v4, s19
	v_sub_u32_e32 v0, v0, v5
	s_movk_i32 s10, 0x4ec
	v_mad_u64_u32 v[4:5], s[10:11], v4, s10, v[0:1]
	v_mad_u64_u32 v[8:9], s[10:11], s16, v4, 0
	v_mov_b32_e32 v0, v9
	v_mad_u64_u32 v[24:25], s[10:11], s17, v4, v[0:1]
	v_mov_b32_e32 v9, v24
	v_lshl_add_u64 v[8:9], v[8:9], 2, v[2:3]
	v_pack_b32_f16 v0, v31, v44
	v_add_u32_e32 v5, 0xb4, v4
	global_store_dword v[8:9], v0, off
	v_mad_u64_u32 v[8:9], s[10:11], s16, v5, 0
	v_mov_b32_e32 v0, v9
	v_mad_u64_u32 v[24:25], s[10:11], s17, v5, v[0:1]
	v_mov_b32_e32 v9, v24
	v_lshl_add_u64 v[8:9], v[8:9], 2, v[2:3]
	v_pack_b32_f16 v0, v46, v35
	v_add_u32_e32 v5, 0x168, v4
	global_store_dword v[8:9], v0, off
	;; [unrolled: 8-line block ×5, first 2 shown]
	v_mad_u64_u32 v[8:9], s[10:11], s16, v5, 0
	v_mov_b32_e32 v0, v9
	v_mad_u64_u32 v[24:25], s[10:11], s17, v5, v[0:1]
	v_mov_b32_e32 v9, v24
	v_lshl_add_u64 v[8:9], v[8:9], 2, v[2:3]
	v_pack_b32_f16 v0, v53, v54
	global_store_dword v[8:9], v0, off
	v_add_u32_e32 v8, 0x438, v4
	v_mad_u64_u32 v[4:5], s[10:11], s16, v8, 0
	v_mov_b32_e32 v0, v5
	v_mad_u64_u32 v[8:9], s[10:11], s17, v8, v[0:1]
	v_mov_b32_e32 v5, v8
	v_lshl_add_u64 v[4:5], v[4:5], 2, v[2:3]
	v_pack_b32_f16 v0, v68, v67
	global_store_dword v[4:5], v0, off
	v_add_u32_e32 v4, 0x7e, v10
	v_cmp_gt_u32_e32 vcc, s19, v4
	s_and_b64 exec, exec, vcc
	s_cbranch_execz .LBB0_36
; %bb.35:
	v_subrev_u32_e32 v0, 54, v10
	v_cndmask_b32_e64 v0, v0, v11, s[0:1]
	v_mul_i32_i24_e32 v0, 6, v0
	v_lshl_add_u64 v[0:1], v[0:1], 2, s[4:5]
	global_load_dwordx4 v[24:27], v[0:1], off offset:712
	global_load_dwordx2 v[8:9], v[0:1], off offset:728
	s_waitcnt vmcnt(1)
	v_mul_f16_sdwa v0, v19, v24 dst_sel:DWORD dst_unused:UNUSED_PAD src0_sel:DWORD src1_sel:WORD_1
	v_mul_f16_sdwa v1, v13, v24 dst_sel:DWORD dst_unused:UNUSED_PAD src0_sel:DWORD src1_sel:WORD_1
	;; [unrolled: 1-line block ×4, first 2 shown]
	s_waitcnt vmcnt(0)
	v_mul_f16_sdwa v32, v21, v8 dst_sel:DWORD dst_unused:UNUSED_PAD src0_sel:DWORD src1_sel:WORD_1
	v_mul_f16_sdwa v33, v15, v8 dst_sel:DWORD dst_unused:UNUSED_PAD src0_sel:DWORD src1_sel:WORD_1
	v_mul_f16_sdwa v34, v7, v9 dst_sel:DWORD dst_unused:UNUSED_PAD src0_sel:DWORD src1_sel:WORD_1
	v_mul_f16_sdwa v35, v6, v9 dst_sel:DWORD dst_unused:UNUSED_PAD src0_sel:DWORD src1_sel:WORD_1
	v_mul_f16_sdwa v28, v22, v26 dst_sel:DWORD dst_unused:UNUSED_PAD src0_sel:DWORD src1_sel:WORD_1
	v_mul_f16_sdwa v29, v16, v26 dst_sel:DWORD dst_unused:UNUSED_PAD src0_sel:DWORD src1_sel:WORD_1
	v_mul_f16_sdwa v30, v23, v27 dst_sel:DWORD dst_unused:UNUSED_PAD src0_sel:DWORD src1_sel:WORD_1
	v_mul_f16_sdwa v31, v17, v27 dst_sel:DWORD dst_unused:UNUSED_PAD src0_sel:DWORD src1_sel:WORD_1
	v_fma_f16 v0, v13, v24, v0
	v_fma_f16 v1, v19, v24, -v1
	v_fma_f16 v5, v14, v25, v5
	v_fma_f16 v11, v20, v25, -v11
	;; [unrolled: 2-line block ×6, first 2 shown]
	v_add_f16_e32 v9, v0, v6
	v_add_f16_e32 v19, v1, v7
	v_sub_f16_e32 v0, v0, v6
	v_sub_f16_e32 v1, v1, v7
	v_add_f16_e32 v6, v5, v15
	v_add_f16_e32 v7, v11, v8
	v_sub_f16_e32 v5, v5, v15
	v_sub_f16_e32 v8, v11, v8
	;; [unrolled: 4-line block ×4, first 2 shown]
	v_sub_f16_e32 v9, v9, v11
	v_sub_f16_e32 v19, v19, v15
	;; [unrolled: 1-line block ×4, first 2 shown]
	v_add_f16_e32 v22, v13, v5
	v_add_f16_e32 v23, v14, v8
	v_sub_f16_e32 v24, v13, v5
	v_sub_f16_e32 v25, v14, v8
	;; [unrolled: 1-line block ×4, first 2 shown]
	v_add_f16_e32 v11, v11, v16
	v_add_f16_e32 v15, v15, v17
	v_sub_f16_e32 v13, v0, v13
	v_sub_f16_e32 v14, v1, v14
	v_add_f16_e32 v0, v22, v0
	v_add_f16_e32 v1, v23, v1
	v_mul_f16_e32 v9, 0x3a52, v9
	v_mul_f16_e32 v16, 0x3a52, v19
	;; [unrolled: 1-line block ×8, first 2 shown]
	v_add_f16_e32 v12, v12, v11
	v_add_f16_e32 v18, v18, v15
	v_fma_f16 v6, v6, s7, v9
	v_fma_f16 v7, v7, s7, v16
	v_fma_f16 v17, v20, s13, -v17
	v_fma_f16 v19, v21, s13, -v19
	;; [unrolled: 1-line block ×4, first 2 shown]
	v_fma_f16 v20, v13, s3, v22
	v_fma_f16 v21, v14, s3, v23
	v_fma_f16 v5, v5, s8, -v22
	v_fma_f16 v8, v8, s8, -v23
	;; [unrolled: 1-line block ×4, first 2 shown]
	v_fma_f16 v11, v11, s6, v12
	v_fma_f16 v15, v15, s6, v18
	v_add_f16_e32 v6, v6, v11
	v_add_f16_e32 v7, v7, v15
	;; [unrolled: 1-line block ×6, first 2 shown]
	v_fma_f16 v15, v0, s2, v20
	v_fma_f16 v16, v1, s2, v21
	v_fma_f16 v5, v0, s2, v5
	v_fma_f16 v8, v1, s2, v8
	v_fma_f16 v0, v0, s2, v13
	v_fma_f16 v1, v1, s2, v14
	v_add_f16_e32 v20, v1, v9
	v_sub_f16_e32 v21, v11, v0
	v_sub_f16_e32 v9, v9, v1
	v_add_f16_e32 v11, v0, v11
	v_mad_u64_u32 v[0:1], s[0:1], s16, v4, 0
	v_add_f16_e32 v13, v16, v6
	v_sub_f16_e32 v14, v7, v15
	v_sub_f16_e32 v16, v6, v16
	v_add_f16_e32 v7, v15, v7
	v_mov_b32_e32 v6, v1
	v_sub_f16_e32 v22, v17, v8
	v_add_f16_e32 v23, v5, v19
	v_add_f16_e32 v8, v8, v17
	v_sub_f16_e32 v17, v19, v5
	v_mad_u64_u32 v[4:5], s[0:1], s17, v4, v[6:7]
	v_mov_b32_e32 v1, v4
	v_lshl_add_u64 v[0:1], v[0:1], 2, v[2:3]
	v_pack_b32_f16 v4, v12, v18
	v_add_u32_e32 v5, 0x132, v10
	global_store_dword v[0:1], v4, off
	v_mad_u64_u32 v[0:1], s[0:1], s16, v5, 0
	v_mov_b32_e32 v4, v1
	v_mad_u64_u32 v[4:5], s[0:1], s17, v5, v[4:5]
	v_mov_b32_e32 v1, v4
	v_lshl_add_u64 v[0:1], v[0:1], 2, v[2:3]
	v_pack_b32_f16 v4, v13, v14
	v_add_u32_e32 v5, 0x1e6, v10
	global_store_dword v[0:1], v4, off
	v_mad_u64_u32 v[0:1], s[0:1], s16, v5, 0
	v_mov_b32_e32 v4, v1
	;; [unrolled: 8-line block ×6, first 2 shown]
	v_mad_u64_u32 v[4:5], s[0:1], s17, v5, v[4:5]
	v_mov_b32_e32 v1, v4
	v_lshl_add_u64 v[0:1], v[0:1], 2, v[2:3]
	v_pack_b32_f16 v2, v16, v7
	global_store_dword v[0:1], v2, off
.LBB0_36:
	s_endpgm
	.section	.rodata,"a",@progbits
	.p2align	6, 0x0
	.amdhsa_kernel fft_rtc_back_len1260_factors_2_2_3_3_5_7_wgs_63_tpt_63_halfLds_half_op_CI_CI_sbrr_dirReg
		.amdhsa_group_segment_fixed_size 0
		.amdhsa_private_segment_fixed_size 0
		.amdhsa_kernarg_size 104
		.amdhsa_user_sgpr_count 2
		.amdhsa_user_sgpr_dispatch_ptr 0
		.amdhsa_user_sgpr_queue_ptr 0
		.amdhsa_user_sgpr_kernarg_segment_ptr 1
		.amdhsa_user_sgpr_dispatch_id 0
		.amdhsa_user_sgpr_kernarg_preload_length 0
		.amdhsa_user_sgpr_kernarg_preload_offset 0
		.amdhsa_user_sgpr_private_segment_size 0
		.amdhsa_uses_dynamic_stack 0
		.amdhsa_enable_private_segment 0
		.amdhsa_system_sgpr_workgroup_id_x 1
		.amdhsa_system_sgpr_workgroup_id_y 0
		.amdhsa_system_sgpr_workgroup_id_z 0
		.amdhsa_system_sgpr_workgroup_info 0
		.amdhsa_system_vgpr_workitem_id 0
		.amdhsa_next_free_vgpr 113
		.amdhsa_next_free_sgpr 32
		.amdhsa_accum_offset 116
		.amdhsa_reserve_vcc 1
		.amdhsa_float_round_mode_32 0
		.amdhsa_float_round_mode_16_64 0
		.amdhsa_float_denorm_mode_32 3
		.amdhsa_float_denorm_mode_16_64 3
		.amdhsa_dx10_clamp 1
		.amdhsa_ieee_mode 1
		.amdhsa_fp16_overflow 0
		.amdhsa_tg_split 0
		.amdhsa_exception_fp_ieee_invalid_op 0
		.amdhsa_exception_fp_denorm_src 0
		.amdhsa_exception_fp_ieee_div_zero 0
		.amdhsa_exception_fp_ieee_overflow 0
		.amdhsa_exception_fp_ieee_underflow 0
		.amdhsa_exception_fp_ieee_inexact 0
		.amdhsa_exception_int_div_zero 0
	.end_amdhsa_kernel
	.text
.Lfunc_end0:
	.size	fft_rtc_back_len1260_factors_2_2_3_3_5_7_wgs_63_tpt_63_halfLds_half_op_CI_CI_sbrr_dirReg, .Lfunc_end0-fft_rtc_back_len1260_factors_2_2_3_3_5_7_wgs_63_tpt_63_halfLds_half_op_CI_CI_sbrr_dirReg
                                        ; -- End function
	.section	.AMDGPU.csdata,"",@progbits
; Kernel info:
; codeLenInByte = 15800
; NumSgprs: 38
; NumVgprs: 113
; NumAgprs: 0
; TotalNumVgprs: 113
; ScratchSize: 0
; MemoryBound: 0
; FloatMode: 240
; IeeeMode: 1
; LDSByteSize: 0 bytes/workgroup (compile time only)
; SGPRBlocks: 4
; VGPRBlocks: 14
; NumSGPRsForWavesPerEU: 38
; NumVGPRsForWavesPerEU: 113
; AccumOffset: 116
; Occupancy: 4
; WaveLimiterHint : 1
; COMPUTE_PGM_RSRC2:SCRATCH_EN: 0
; COMPUTE_PGM_RSRC2:USER_SGPR: 2
; COMPUTE_PGM_RSRC2:TRAP_HANDLER: 0
; COMPUTE_PGM_RSRC2:TGID_X_EN: 1
; COMPUTE_PGM_RSRC2:TGID_Y_EN: 0
; COMPUTE_PGM_RSRC2:TGID_Z_EN: 0
; COMPUTE_PGM_RSRC2:TIDIG_COMP_CNT: 0
; COMPUTE_PGM_RSRC3_GFX90A:ACCUM_OFFSET: 28
; COMPUTE_PGM_RSRC3_GFX90A:TG_SPLIT: 0
	.text
	.p2alignl 6, 3212836864
	.fill 256, 4, 3212836864
	.type	__hip_cuid_1904ab7b03974d8d,@object ; @__hip_cuid_1904ab7b03974d8d
	.section	.bss,"aw",@nobits
	.globl	__hip_cuid_1904ab7b03974d8d
__hip_cuid_1904ab7b03974d8d:
	.byte	0                               ; 0x0
	.size	__hip_cuid_1904ab7b03974d8d, 1

	.ident	"AMD clang version 19.0.0git (https://github.com/RadeonOpenCompute/llvm-project roc-6.4.0 25133 c7fe45cf4b819c5991fe208aaa96edf142730f1d)"
	.section	".note.GNU-stack","",@progbits
	.addrsig
	.addrsig_sym __hip_cuid_1904ab7b03974d8d
	.amdgpu_metadata
---
amdhsa.kernels:
  - .agpr_count:     0
    .args:
      - .actual_access:  read_only
        .address_space:  global
        .offset:         0
        .size:           8
        .value_kind:     global_buffer
      - .offset:         8
        .size:           8
        .value_kind:     by_value
      - .actual_access:  read_only
        .address_space:  global
        .offset:         16
        .size:           8
        .value_kind:     global_buffer
      - .actual_access:  read_only
        .address_space:  global
        .offset:         24
        .size:           8
        .value_kind:     global_buffer
      - .actual_access:  read_only
        .address_space:  global
        .offset:         32
        .size:           8
        .value_kind:     global_buffer
      - .offset:         40
        .size:           8
        .value_kind:     by_value
      - .actual_access:  read_only
        .address_space:  global
        .offset:         48
        .size:           8
        .value_kind:     global_buffer
      - .actual_access:  read_only
        .address_space:  global
        .offset:         56
        .size:           8
        .value_kind:     global_buffer
      - .offset:         64
        .size:           4
        .value_kind:     by_value
      - .actual_access:  read_only
        .address_space:  global
        .offset:         72
        .size:           8
        .value_kind:     global_buffer
      - .actual_access:  read_only
        .address_space:  global
        .offset:         80
        .size:           8
        .value_kind:     global_buffer
      - .actual_access:  read_only
        .address_space:  global
        .offset:         88
        .size:           8
        .value_kind:     global_buffer
      - .actual_access:  write_only
        .address_space:  global
        .offset:         96
        .size:           8
        .value_kind:     global_buffer
    .group_segment_fixed_size: 0
    .kernarg_segment_align: 8
    .kernarg_segment_size: 104
    .language:       OpenCL C
    .language_version:
      - 2
      - 0
    .max_flat_workgroup_size: 63
    .name:           fft_rtc_back_len1260_factors_2_2_3_3_5_7_wgs_63_tpt_63_halfLds_half_op_CI_CI_sbrr_dirReg
    .private_segment_fixed_size: 0
    .sgpr_count:     38
    .sgpr_spill_count: 0
    .symbol:         fft_rtc_back_len1260_factors_2_2_3_3_5_7_wgs_63_tpt_63_halfLds_half_op_CI_CI_sbrr_dirReg.kd
    .uniform_work_group_size: 1
    .uses_dynamic_stack: false
    .vgpr_count:     113
    .vgpr_spill_count: 0
    .wavefront_size: 64
amdhsa.target:   amdgcn-amd-amdhsa--gfx950
amdhsa.version:
  - 1
  - 2
...

	.end_amdgpu_metadata
